;; amdgpu-corpus repo=ROCm/rocFFT kind=compiled arch=gfx906 opt=O3
	.text
	.amdgcn_target "amdgcn-amd-amdhsa--gfx906"
	.amdhsa_code_object_version 6
	.protected	bluestein_single_back_len425_dim1_sp_op_CI_CI ; -- Begin function bluestein_single_back_len425_dim1_sp_op_CI_CI
	.globl	bluestein_single_back_len425_dim1_sp_op_CI_CI
	.p2align	8
	.type	bluestein_single_back_len425_dim1_sp_op_CI_CI,@function
bluestein_single_back_len425_dim1_sp_op_CI_CI: ; @bluestein_single_back_len425_dim1_sp_op_CI_CI
; %bb.0:
	s_mov_b64 s[22:23], s[2:3]
	v_mul_u32_u24_e32 v1, 0xf10, v0
	s_mov_b64 s[20:21], s[0:1]
	s_load_dwordx4 s[0:3], s[4:5], 0x28
	v_lshrrev_b32_e32 v1, 16, v1
	s_add_u32 s20, s20, s7
	v_mad_u64_u32 v[137:138], s[6:7], s6, 3, v[1:2]
	v_mov_b32_e32 v138, 0
	s_addc_u32 s21, s21, 0
	s_waitcnt lgkmcnt(0)
	v_cmp_gt_u64_e32 vcc, s[0:1], v[137:138]
	s_and_saveexec_b64 s[0:1], vcc
	s_cbranch_execz .LBB0_15
; %bb.1:
	s_load_dwordx4 s[8:11], s[4:5], 0x18
	s_load_dwordx2 s[16:17], s[4:5], 0x0
	s_load_dwordx2 s[6:7], s[4:5], 0x38
	v_mul_lo_u16_e32 v1, 17, v1
	v_sub_u16_e32 v154, v0, v1
	s_waitcnt lgkmcnt(0)
	s_load_dwordx4 s[12:15], s[8:9], 0x0
	s_mov_b32 s8, 0xaaaaaaab
	v_mul_hi_u32 v3, v137, s8
	s_load_dwordx4 s[8:11], s[10:11], 0x0
	v_lshlrev_b32_e32 v106, 3, v154
	s_waitcnt lgkmcnt(0)
	v_mad_u64_u32 v[0:1], s[0:1], s14, v137, 0
	v_mad_u64_u32 v[4:5], s[0:1], s12, v154, 0
	;; [unrolled: 1-line block ×3, first 2 shown]
	v_mov_b32_e32 v2, v5
	v_lshrrev_b32_e32 v6, 1, v3
	v_mad_u64_u32 v[2:3], s[0:1], s13, v154, v[2:3]
	v_lshl_add_u32 v3, v6, 1, v6
	v_lshlrev_b64 v[0:1], 3, v[0:1]
	v_sub_u32_e32 v3, v137, v3
	v_mul_u32_u24_e32 v39, 0x1a9, v3
	v_mov_b32_e32 v5, v2
	v_mov_b32_e32 v3, s3
	v_add_co_u32_e32 v2, vcc, s2, v0
	v_addc_co_u32_e32 v3, vcc, v3, v1, vcc
	v_lshlrev_b64 v[0:1], 3, v[4:5]
	s_mul_i32 s0, s13, 25
	s_mul_hi_u32 s1, s12, 25
	v_add_co_u32_e32 v0, vcc, v2, v0
	s_add_i32 s1, s1, s0
	s_mul_i32 s0, s12, 25
	v_addc_co_u32_e32 v1, vcc, v3, v1, vcc
	s_lshl_b64 s[2:3], s[0:1], 3
	v_mov_b32_e32 v36, s3
	v_add_co_u32_e32 v4, vcc, s2, v0
	v_addc_co_u32_e32 v5, vcc, v1, v36, vcc
	v_add_co_u32_e32 v6, vcc, s2, v4
	v_addc_co_u32_e32 v7, vcc, v5, v36, vcc
	;; [unrolled: 2-line block ×3, first 2 shown]
	global_load_dwordx2 v[10:11], v[0:1], off
	global_load_dwordx2 v[12:13], v[4:5], off
	global_load_dwordx2 v[14:15], v[6:7], off
	global_load_dwordx2 v[16:17], v[8:9], off
	global_load_dwordx2 v[50:51], v106, s[16:17]
	global_load_dwordx2 v[48:49], v106, s[16:17] offset:200
	global_load_dwordx2 v[44:45], v106, s[16:17] offset:400
	;; [unrolled: 1-line block ×3, first 2 shown]
	v_add_co_u32_e32 v0, vcc, s2, v8
	v_addc_co_u32_e32 v1, vcc, v9, v36, vcc
	global_load_dwordx2 v[4:5], v[0:1], off
	v_add_co_u32_e32 v0, vcc, s2, v0
	v_addc_co_u32_e32 v1, vcc, v1, v36, vcc
	global_load_dwordx2 v[6:7], v[0:1], off
	;; [unrolled: 3-line block ×4, first 2 shown]
	global_load_dwordx2 v[46:47], v106, s[16:17] offset:800
	global_load_dwordx2 v[42:43], v106, s[16:17] offset:1000
	;; [unrolled: 1-line block ×4, first 2 shown]
	v_add_co_u32_e32 v0, vcc, s2, v0
	v_addc_co_u32_e32 v1, vcc, v1, v36, vcc
	global_load_dwordx2 v[20:21], v[0:1], off
	global_load_dwordx2 v[60:61], v106, s[16:17] offset:1600
	v_add_co_u32_e32 v0, vcc, s2, v0
	v_addc_co_u32_e32 v1, vcc, v1, v36, vcc
	global_load_dwordx2 v[22:23], v[0:1], off
	v_add_co_u32_e32 v0, vcc, s2, v0
	v_addc_co_u32_e32 v1, vcc, v1, v36, vcc
	global_load_dwordx2 v[24:25], v[0:1], off
	v_add_co_u32_e32 v0, vcc, s2, v0
	v_addc_co_u32_e32 v1, vcc, v1, v36, vcc
	global_load_dwordx2 v[68:69], v106, s[16:17] offset:1800
	global_load_dwordx2 v[26:27], v[0:1], off
	global_load_dwordx2 v[62:63], v106, s[16:17] offset:2000
	global_load_dwordx2 v[66:67], v106, s[16:17] offset:2200
	v_add_co_u32_e32 v0, vcc, s2, v0
	v_addc_co_u32_e32 v1, vcc, v1, v36, vcc
	global_load_dwordx2 v[28:29], v[0:1], off
	v_add_co_u32_e32 v0, vcc, s2, v0
	v_addc_co_u32_e32 v1, vcc, v1, v36, vcc
	global_load_dwordx2 v[30:31], v[0:1], off
	global_load_dwordx2 v[40:41], v106, s[16:17] offset:2400
	global_load_dwordx2 v[56:57], v106, s[16:17] offset:2600
	v_add_co_u32_e32 v0, vcc, s2, v0
	v_addc_co_u32_e32 v1, vcc, v1, v36, vcc
	global_load_dwordx2 v[32:33], v[0:1], off
	v_add_co_u32_e32 v0, vcc, s2, v0
	v_addc_co_u32_e32 v1, vcc, v1, v36, vcc
	global_load_dwordx2 v[54:55], v106, s[16:17] offset:2800
	global_load_dwordx2 v[34:35], v[0:1], off
	global_load_dwordx2 v[58:59], v106, s[16:17] offset:3000
	v_add_co_u32_e32 v0, vcc, s2, v0
	v_addc_co_u32_e32 v1, vcc, v1, v36, vcc
	v_mov_b32_e32 v38, s17
	v_add_co_u32_e32 v243, vcc, s16, v106
	v_addc_co_u32_e32 v244, vcc, 0, v38, vcc
	v_lshlrev_b32_e32 v39, 3, v39
	global_load_dwordx2 v[36:37], v[0:1], off
	global_load_dwordx2 v[52:53], v106, s[16:17] offset:3200
	v_add_u32_e32 v180, v106, v39
	buffer_store_dword v39, off, s[20:23], 0 ; 4-byte Folded Spill
	v_cmp_gt_u16_e32 vcc, 8, v154
	s_waitcnt vmcnt(30)
	v_mul_f32_e32 v38, v11, v51
	v_fmac_f32_e32 v38, v10, v50
	v_mul_f32_e32 v10, v10, v51
	buffer_store_dword v50, off, s[20:23], 0 offset:44 ; 4-byte Folded Spill
	s_nop 0
	buffer_store_dword v51, off, s[20:23], 0 offset:48 ; 4-byte Folded Spill
	v_fma_f32 v39, v11, v50, -v10
	s_waitcnt vmcnt(31)
	v_mul_f32_e32 v10, v13, v49
	v_fmac_f32_e32 v10, v12, v48
	v_mul_f32_e32 v11, v12, v49
	buffer_store_dword v48, off, s[20:23], 0 offset:36 ; 4-byte Folded Spill
	s_nop 0
	buffer_store_dword v49, off, s[20:23], 0 offset:40 ; 4-byte Folded Spill
	s_waitcnt vmcnt(31)
	v_mul_f32_e32 v12, v17, v249
	v_fmac_f32_e32 v12, v16, v248
	v_fma_f32 v11, v13, v48, -v11
	ds_write2_b64 v180, v[38:39], v[10:11] offset1:25
	v_mul_f32_e32 v10, v15, v45
	v_fmac_f32_e32 v10, v14, v44
	v_mul_f32_e32 v11, v14, v45
	buffer_store_dword v44, off, s[20:23], 0 offset:20 ; 4-byte Folded Spill
	s_nop 0
	buffer_store_dword v45, off, s[20:23], 0 offset:24 ; 4-byte Folded Spill
	v_mul_f32_e32 v13, v16, v249
	v_fma_f32 v13, v17, v248, -v13
	v_add_u32_e32 v16, 0x800, v180
	v_fma_f32 v11, v15, v44, -v11
	ds_write2_b64 v180, v[10:11], v[12:13] offset0:50 offset1:75
	s_waitcnt vmcnt(28)
	v_mul_f32_e32 v10, v5, v47
	v_fmac_f32_e32 v10, v4, v46
	v_mul_f32_e32 v4, v4, v47
	buffer_store_dword v46, off, s[20:23], 0 offset:28 ; 4-byte Folded Spill
	s_nop 0
	buffer_store_dword v47, off, s[20:23], 0 offset:32 ; 4-byte Folded Spill
	v_fma_f32 v11, v5, v46, -v4
	s_waitcnt vmcnt(29)
	v_mul_f32_e32 v4, v7, v43
	v_fmac_f32_e32 v4, v6, v42
	v_mul_f32_e32 v5, v6, v43
	buffer_store_dword v42, off, s[20:23], 0 offset:12 ; 4-byte Folded Spill
	s_nop 0
	buffer_store_dword v43, off, s[20:23], 0 offset:16 ; 4-byte Folded Spill
	s_waitcnt vmcnt(29)
	v_mul_f32_e32 v6, v19, v65
	v_fmac_f32_e32 v6, v18, v64
	v_fma_f32 v5, v7, v42, -v5
	ds_write2_b64 v180, v[10:11], v[4:5] offset0:100 offset1:125
	v_mul_f32_e32 v7, v18, v65
	buffer_store_dword v64, off, s[20:23], 0 offset:100 ; 4-byte Folded Spill
	s_nop 0
	buffer_store_dword v65, off, s[20:23], 0 offset:104 ; 4-byte Folded Spill
	v_mul_f32_e32 v4, v9, v166
	v_mul_f32_e32 v5, v8, v166
	v_fmac_f32_e32 v4, v8, v165
	v_fma_f32 v5, v9, v165, -v5
	v_add_u32_e32 v8, 0x400, v180
	v_fma_f32 v7, v19, v64, -v7
	ds_write2_b64 v180, v[4:5], v[6:7] offset0:150 offset1:175
	s_waitcnt vmcnt(29)
	v_mul_f32_e32 v4, v21, v61
	s_waitcnt vmcnt(26)
	v_mul_f32_e32 v6, v23, v69
	v_fmac_f32_e32 v4, v20, v60
	v_mul_f32_e32 v5, v20, v61
	buffer_store_dword v60, off, s[20:23], 0 offset:84 ; 4-byte Folded Spill
	s_nop 0
	buffer_store_dword v61, off, s[20:23], 0 offset:88 ; 4-byte Folded Spill
	v_fmac_f32_e32 v6, v22, v68
	v_mul_f32_e32 v7, v22, v69
	buffer_store_dword v68, off, s[20:23], 0 offset:116 ; 4-byte Folded Spill
	s_nop 0
	buffer_store_dword v69, off, s[20:23], 0 offset:120 ; 4-byte Folded Spill
	v_fma_f32 v5, v21, v60, -v5
	v_fma_f32 v7, v23, v68, -v7
	ds_write2_b64 v180, v[4:5], v[6:7] offset0:200 offset1:225
	s_waitcnt vmcnt(28)
	v_mul_f32_e32 v4, v25, v63
	s_waitcnt vmcnt(27)
	v_mul_f32_e32 v6, v27, v67
	v_fmac_f32_e32 v4, v24, v62
	v_mul_f32_e32 v5, v24, v63
	buffer_store_dword v62, off, s[20:23], 0 offset:92 ; 4-byte Folded Spill
	s_nop 0
	buffer_store_dword v63, off, s[20:23], 0 offset:96 ; 4-byte Folded Spill
	v_fmac_f32_e32 v6, v26, v66
	v_mul_f32_e32 v7, v26, v67
	buffer_store_dword v66, off, s[20:23], 0 offset:108 ; 4-byte Folded Spill
	s_nop 0
	buffer_store_dword v67, off, s[20:23], 0 offset:112 ; 4-byte Folded Spill
	v_fma_f32 v5, v25, v62, -v5
	;; [unrolled: 17-line block ×4, first 2 shown]
	v_fma_f32 v7, v35, v58, -v7
	ds_write2_b64 v16, v[4:5], v[6:7] offset0:94 offset1:119
	s_waitcnt vmcnt(29)
	v_mul_f32_e32 v4, v37, v53
	v_fmac_f32_e32 v4, v36, v52
	v_mul_f32_e32 v5, v36, v53
	buffer_store_dword v52, off, s[20:23], 0 offset:52 ; 4-byte Folded Spill
	s_nop 0
	buffer_store_dword v53, off, s[20:23], 0 offset:56 ; 4-byte Folded Spill
	v_fma_f32 v5, v37, v52, -v5
	ds_write_b64 v180, v[4:5] offset:3200
	s_and_saveexec_b64 s[14:15], vcc
	s_cbranch_execz .LBB0_3
; %bb.2:
	v_mov_b32_e32 v4, 0xfffff408
	v_mad_u64_u32 v[0:1], s[0:1], s12, v4, v[0:1]
	s_mul_i32 s0, s13, 0xfffff408
	s_sub_i32 s0, s0, s12
	v_add_u32_e32 v1, s0, v1
	global_load_dwordx2 v[4:5], v[0:1], off
	v_mov_b32_e32 v68, s3
	v_add_co_u32_e64 v0, s[0:1], s2, v0
	v_addc_co_u32_e64 v1, s[0:1], v1, v68, s[0:1]
	global_load_dwordx2 v[6:7], v[0:1], off
	v_add_co_u32_e64 v0, s[0:1], s2, v0
	v_addc_co_u32_e64 v1, s[0:1], v1, v68, s[0:1]
	global_load_dwordx2 v[9:10], v[0:1], off
	;; [unrolled: 3-line block ×3, first 2 shown]
	global_load_dwordx2 v[13:14], v[243:244], off offset:136
	global_load_dwordx2 v[17:18], v[243:244], off offset:336
	;; [unrolled: 1-line block ×4, first 2 shown]
	v_add_co_u32_e64 v0, s[0:1], s2, v0
	v_or_b32_e32 v29, 0xc0, v154
	v_addc_co_u32_e64 v1, s[0:1], v1, v68, s[0:1]
	v_mad_u64_u32 v[25:26], s[0:1], s12, v29, 0
	global_load_dwordx2 v[23:24], v[0:1], off
	v_add_co_u32_e64 v0, s[0:1], s2, v0
	v_mov_b32_e32 v15, v26
	v_addc_co_u32_e64 v1, s[0:1], v1, v68, s[0:1]
	v_mad_u64_u32 v[29:30], s[0:1], s13, v29, v[15:16]
	global_load_dwordx2 v[27:28], v[0:1], off
	v_add_co_u32_e64 v0, s[0:1], s2, v0
	v_mov_b32_e32 v26, v29
	v_lshlrev_b64 v[25:26], 3, v[25:26]
	v_addc_co_u32_e64 v1, s[0:1], v1, v68, s[0:1]
	v_add_co_u32_e64 v25, s[0:1], v2, v25
	v_mov_b32_e32 v29, 0x190
	global_load_dwordx2 v[30:31], v[0:1], off
	v_addc_co_u32_e64 v26, s[0:1], v3, v26, s[0:1]
	v_mad_u64_u32 v[0:1], s[0:1], s12, v29, v[0:1]
	s_mul_i32 s3, s13, 0x190
	global_load_dwordx2 v[25:26], v[25:26], off
	v_add_u32_e32 v1, s3, v1
	global_load_dwordx2 v[32:33], v[243:244], off offset:936
	global_load_dwordx2 v[34:35], v[243:244], off offset:1136
	;; [unrolled: 1-line block ×4, first 2 shown]
	global_load_dwordx2 v[40:41], v[0:1], off
	v_add_co_u32_e64 v0, s[0:1], s2, v0
	v_addc_co_u32_e64 v1, s[0:1], v1, v68, s[0:1]
	global_load_dwordx2 v[42:43], v[0:1], off
	v_add_co_u32_e64 v0, s[0:1], s2, v0
	v_addc_co_u32_e64 v1, s[0:1], v1, v68, s[0:1]
	global_load_dwordx2 v[44:45], v[0:1], off
	v_add_co_u32_e64 v0, s[0:1], s2, v0
	v_addc_co_u32_e64 v1, s[0:1], v1, v68, s[0:1]
	global_load_dwordx2 v[46:47], v[0:1], off
	global_load_dwordx2 v[48:49], v[243:244], off offset:1736
	global_load_dwordx2 v[50:51], v[243:244], off offset:1936
	global_load_dwordx2 v[52:53], v[243:244], off offset:2136
	global_load_dwordx2 v[54:55], v[243:244], off offset:2336
	v_add_co_u32_e64 v0, s[0:1], s2, v0
	v_addc_co_u32_e64 v1, s[0:1], v1, v68, s[0:1]
	global_load_dwordx2 v[56:57], v[0:1], off
	v_add_co_u32_e64 v0, s[0:1], s2, v0
	v_or_b32_e32 v66, 0x188, v154
	v_addc_co_u32_e64 v1, s[0:1], v1, v68, s[0:1]
	v_mad_u64_u32 v[58:59], s[0:1], s12, v66, 0
	global_load_dwordx2 v[60:61], v[0:1], off
	global_load_dwordx2 v[62:63], v[243:244], off offset:2536
	global_load_dwordx2 v[64:65], v[243:244], off offset:2736
	v_mov_b32_e32 v15, v59
	v_mad_u64_u32 v[66:67], s[0:1], s13, v66, v[15:16]
	v_add_co_u32_e64 v0, s[0:1], s2, v0
	v_mov_b32_e32 v59, v66
	v_lshlrev_b64 v[58:59], 3, v[58:59]
	v_addc_co_u32_e64 v1, s[0:1], v1, v68, s[0:1]
	v_add_co_u32_e64 v2, s[0:1], v2, v58
	global_load_dwordx2 v[67:68], v[0:1], off
	v_addc_co_u32_e64 v3, s[0:1], v3, v59, s[0:1]
	v_mad_u64_u32 v[0:1], s[0:1], s12, v29, v[0:1]
	global_load_dwordx2 v[58:59], v[243:244], off offset:2936
	global_load_dwordx2 v[69:70], v[2:3], off
	v_add_u32_e32 v1, s3, v1
	global_load_dwordx2 v[2:3], v[243:244], off offset:3136
	global_load_dwordx2 v[71:72], v[0:1], off
	global_load_dwordx2 v[73:74], v[243:244], off offset:3336
	s_waitcnt vmcnt(29)
	v_mul_f32_e32 v0, v5, v14
	v_mul_f32_e32 v1, v4, v14
	v_fmac_f32_e32 v0, v4, v13
	v_fma_f32 v1, v5, v13, -v1
	s_waitcnt vmcnt(28)
	v_mul_f32_e32 v4, v7, v18
	v_mul_f32_e32 v5, v6, v18
	v_fmac_f32_e32 v4, v6, v17
	v_fma_f32 v5, v7, v17, -v5
	ds_write2_b64 v180, v[0:1], v[4:5] offset0:17 offset1:42
	s_waitcnt vmcnt(27)
	v_mul_f32_e32 v0, v10, v20
	v_mul_f32_e32 v1, v9, v20
	s_waitcnt vmcnt(26)
	v_mul_f32_e32 v4, v12, v22
	v_mul_f32_e32 v5, v11, v22
	v_fmac_f32_e32 v0, v9, v19
	v_fma_f32 v1, v10, v19, -v1
	v_fmac_f32_e32 v4, v11, v21
	v_fma_f32 v5, v12, v21, -v5
	ds_write2_b64 v180, v[0:1], v[4:5] offset0:67 offset1:92
	s_waitcnt vmcnt(21)
	v_mul_f32_e32 v0, v24, v33
	v_mul_f32_e32 v1, v23, v33
	s_waitcnt vmcnt(20)
	v_mul_f32_e32 v4, v28, v35
	v_mul_f32_e32 v5, v27, v35
	v_fmac_f32_e32 v0, v23, v32
	v_fma_f32 v1, v24, v32, -v1
	;; [unrolled: 11-line block ×6, first 2 shown]
	v_fmac_f32_e32 v4, v60, v64
	v_fma_f32 v5, v61, v64, -v5
	ds_write2_b64 v16, v[0:1], v[4:5] offset0:61 offset1:86
	s_waitcnt vmcnt(4)
	v_mul_f32_e32 v0, v68, v59
	v_mul_f32_e32 v1, v67, v59
	v_fmac_f32_e32 v0, v67, v58
	v_fma_f32 v1, v68, v58, -v1
	s_waitcnt vmcnt(2)
	v_mul_f32_e32 v4, v70, v3
	v_mul_f32_e32 v3, v69, v3
	v_fmac_f32_e32 v4, v69, v2
	v_fma_f32 v5, v70, v2, -v3
	ds_write2_b64 v16, v[0:1], v[4:5] offset0:111 offset1:136
	s_waitcnt vmcnt(0)
	v_mul_f32_e32 v0, v72, v74
	v_mul_f32_e32 v1, v71, v74
	v_fmac_f32_e32 v0, v71, v73
	v_fma_f32 v1, v72, v73, -v1
	ds_write_b64 v180, v[0:1] offset:3336
.LBB0_3:
	s_or_b64 exec, exec, s[14:15]
	s_waitcnt lgkmcnt(0)
	; wave barrier
	s_waitcnt lgkmcnt(0)
	ds_read2_b64 v[60:63], v180 offset1:25
	ds_read2_b64 v[52:55], v180 offset0:50 offset1:75
	ds_read2_b64 v[12:15], v180 offset0:100 offset1:125
	;; [unrolled: 1-line block ×7, first 2 shown]
	ds_read_b64 v[68:69], v180 offset:3200
	s_load_dwordx2 s[2:3], s[4:5], 0x8
	v_mov_b32_e32 v16, 0
	v_mov_b32_e32 v17, 0
                                        ; implicit-def: $vgpr22
                                        ; implicit-def: $vgpr24
                                        ; implicit-def: $vgpr40
                                        ; implicit-def: $vgpr44
                                        ; implicit-def: $vgpr64
                                        ; implicit-def: $vgpr38
                                        ; implicit-def: $vgpr34
                                        ; implicit-def: $vgpr30
	s_and_saveexec_b64 s[0:1], vcc
	s_cbranch_execz .LBB0_5
; %bb.4:
	ds_read2_b64 v[16:19], v180 offset0:17 offset1:42
	ds_read2_b64 v[28:31], v180 offset0:67 offset1:92
	;; [unrolled: 1-line block ×5, first 2 shown]
	v_add_u32_e32 v44, 0x800, v180
	ds_read2_b64 v[24:27], v44 offset0:11 offset1:36
	ds_read2_b64 v[40:43], v44 offset0:61 offset1:86
	ds_read2_b64 v[44:47], v44 offset0:111 offset1:136
	ds_read_b64 v[64:65], v180 offset:3336
.LBB0_5:
	s_or_b64 exec, exec, s[0:1]
	s_waitcnt lgkmcnt(0)
	v_add_f32_e32 v66, v60, v62
	v_add_f32_e32 v67, v61, v63
	;; [unrolled: 1-line block ×31, first 2 shown]
	v_sub_f32_e32 v62, v62, v68
	v_sub_f32_e32 v63, v63, v69
	v_add_f32_e32 v67, v67, v59
	v_add_f32_e32 v66, v66, v68
	v_mul_f32_e32 v68, 0xbeb8f4ab, v63
	s_mov_b32 s0, 0x3f6eb680
	v_mul_f32_e32 v72, 0xbeb8f4ab, v62
	v_mul_f32_e32 v74, 0xbf2c7751, v63
	s_mov_b32 s1, 0x3f3d2fb0
	v_mul_f32_e32 v76, 0xbf2c7751, v62
	;; [unrolled: 3-line block ×8, first 2 shown]
	v_add_f32_e32 v67, v67, v69
	v_fma_f32 v69, v70, s0, -v68
	v_mov_b32_e32 v73, v72
	v_fmac_f32_e32 v68, 0x3f6eb680, v70
	v_fma_f32 v75, v70, s1, -v74
	v_mov_b32_e32 v77, v76
	v_fmac_f32_e32 v74, 0x3f3d2fb0, v70
	v_fma_f32 v79, v70, s4, -v78
	v_mov_b32_e32 v81, v80
	v_fmac_f32_e32 v78, 0x3ee437d1, v70
	v_fma_f32 v83, v70, s5, -v82
	v_mov_b32_e32 v85, v84
	v_fmac_f32_e32 v82, 0x3dbcf732, v70
	v_fma_f32 v87, v70, s12, -v86
	v_mov_b32_e32 v89, v88
	v_fmac_f32_e32 v86, 0xbe8c1d8e, v70
	v_fma_f32 v91, v70, s13, -v90
	v_mov_b32_e32 v93, v92
	v_fmac_f32_e32 v90, 0xbf1a4643, v70
	v_fma_f32 v95, v70, s14, -v94
	v_mov_b32_e32 v97, v96
	v_fmac_f32_e32 v94, 0xbf59a7d5, v70
	v_fma_f32 v98, v70, s15, -v63
	v_mov_b32_e32 v99, v62
	v_fmac_f32_e32 v63, 0xbf7ba420, v70
	v_add_f32_e32 v69, v60, v69
	v_fmac_f32_e32 v73, 0x3f6eb680, v71
	v_add_f32_e32 v68, v60, v68
	v_fma_f32 v72, v71, s0, -v72
	v_add_f32_e32 v75, v60, v75
	v_fmac_f32_e32 v77, 0x3f3d2fb0, v71
	v_add_f32_e32 v74, v60, v74
	v_fma_f32 v76, v71, s1, -v76
	;; [unrolled: 4-line block ×8, first 2 shown]
	v_add_f32_e32 v63, v59, v53
	v_sub_f32_e32 v53, v53, v59
	v_add_f32_e32 v73, v61, v73
	v_add_f32_e32 v72, v61, v72
	v_add_f32_e32 v77, v61, v77
	v_add_f32_e32 v76, v61, v76
	v_add_f32_e32 v81, v61, v81
	v_add_f32_e32 v80, v61, v80
	v_add_f32_e32 v85, v61, v85
	v_add_f32_e32 v84, v61, v84
	v_add_f32_e32 v89, v61, v89
	v_add_f32_e32 v88, v61, v88
	v_add_f32_e32 v93, v61, v93
	v_add_f32_e32 v92, v61, v92
	v_add_f32_e32 v97, v61, v97
	v_add_f32_e32 v96, v61, v96
	v_add_f32_e32 v99, v61, v99
	v_add_f32_e32 v61, v61, v62
	v_add_f32_e32 v62, v58, v52
	v_sub_f32_e32 v52, v52, v58
	v_mul_f32_e32 v58, 0xbf2c7751, v53
	v_fma_f32 v59, v62, s1, -v58
	v_add_f32_e32 v59, v59, v69
	v_mul_f32_e32 v69, 0xbf2c7751, v52
	v_fmac_f32_e32 v58, 0x3f3d2fb0, v62
	v_mov_b32_e32 v70, v69
	v_add_f32_e32 v58, v58, v68
	v_fma_f32 v68, v63, s1, -v69
	v_mul_f32_e32 v69, 0xbf7ee86f, v53
	v_fmac_f32_e32 v70, 0x3f3d2fb0, v63
	v_add_f32_e32 v68, v68, v72
	v_fma_f32 v71, v62, s5, -v69
	v_mul_f32_e32 v72, 0xbf7ee86f, v52
	v_fmac_f32_e32 v69, 0x3dbcf732, v62
	v_add_f32_e32 v70, v70, v73
	v_mov_b32_e32 v73, v72
	v_add_f32_e32 v69, v69, v74
	v_fma_f32 v72, v63, s5, -v72
	v_mul_f32_e32 v74, 0xbf4c4adb, v53
	v_add_f32_e32 v71, v71, v75
	v_fmac_f32_e32 v73, 0x3dbcf732, v63
	v_add_f32_e32 v72, v72, v76
	v_fma_f32 v75, v62, s13, -v74
	v_mul_f32_e32 v76, 0xbf4c4adb, v52
	v_fmac_f32_e32 v74, 0xbf1a4643, v62
	v_add_f32_e32 v73, v73, v77
	v_mov_b32_e32 v77, v76
	v_add_f32_e32 v74, v74, v78
	v_fma_f32 v76, v63, s13, -v76
	v_mul_f32_e32 v78, 0xbe3c28d5, v53
	v_add_f32_e32 v75, v75, v79
	;; [unrolled: 11-line block ×5, first 2 shown]
	v_add_f32_e32 v88, v88, v92
	v_fma_f32 v91, v62, s4, -v90
	v_mul_f32_e32 v92, 0x3f65296c, v52
	v_mul_f32_e32 v52, 0x3eb8f4ab, v52
	v_add_f32_e32 v91, v91, v95
	v_fmac_f32_e32 v90, 0x3ee437d1, v62
	v_mul_f32_e32 v53, 0x3eb8f4ab, v53
	v_mov_b32_e32 v95, v52
	v_fma_f32 v52, v63, s0, -v52
	v_add_f32_e32 v90, v90, v94
	v_fma_f32 v94, v62, s0, -v53
	v_fmac_f32_e32 v53, 0x3f6eb680, v62
	v_add_f32_e32 v52, v52, v61
	v_add_f32_e32 v61, v57, v55
	v_sub_f32_e32 v55, v55, v57
	v_add_f32_e32 v53, v53, v60
	v_add_f32_e32 v60, v56, v54
	v_sub_f32_e32 v54, v54, v56
	v_mul_f32_e32 v56, 0xbf65296c, v55
	v_fma_f32 v57, v60, s4, -v56
	v_fmac_f32_e32 v89, 0xbe8c1d8e, v63
	v_add_f32_e32 v57, v57, v59
	v_mul_f32_e32 v59, 0xbf65296c, v54
	v_fmac_f32_e32 v56, 0x3ee437d1, v60
	v_add_f32_e32 v89, v89, v93
	v_mov_b32_e32 v93, v92
	v_mov_b32_e32 v62, v59
	v_add_f32_e32 v56, v56, v58
	v_fma_f32 v58, v61, s4, -v59
	v_mul_f32_e32 v59, 0xbf4c4adb, v55
	v_fmac_f32_e32 v93, 0x3ee437d1, v63
	v_fma_f32 v92, v63, s4, -v92
	v_fmac_f32_e32 v95, 0x3f6eb680, v63
	v_fma_f32 v63, v60, s13, -v59
	v_fmac_f32_e32 v59, 0xbf1a4643, v60
	v_fmac_f32_e32 v62, 0x3ee437d1, v61
	v_add_f32_e32 v58, v58, v68
	v_mul_f32_e32 v68, 0xbf4c4adb, v54
	v_add_f32_e32 v59, v59, v69
	v_mul_f32_e32 v69, 0x3e3c28d5, v55
	v_add_f32_e32 v62, v62, v70
	v_add_f32_e32 v63, v63, v71
	v_mov_b32_e32 v70, v68
	v_fma_f32 v68, v61, s13, -v68
	v_fma_f32 v71, v60, s15, -v69
	v_fmac_f32_e32 v69, 0xbf7ba420, v60
	v_fmac_f32_e32 v70, 0xbf1a4643, v61
	v_add_f32_e32 v68, v68, v72
	v_mul_f32_e32 v72, 0x3e3c28d5, v54
	v_add_f32_e32 v69, v69, v74
	v_mul_f32_e32 v74, 0x3f763a35, v55
	v_add_f32_e32 v70, v70, v73
	v_add_f32_e32 v71, v71, v75
	v_mov_b32_e32 v73, v72
	v_fma_f32 v72, v61, s15, -v72
	;; [unrolled: 11-line block ×5, first 2 shown]
	v_fma_f32 v87, v60, s5, -v86
	v_fmac_f32_e32 v86, 0x3dbcf732, v60
	v_mul_f32_e32 v55, 0xbf06c442, v55
	v_add_f32_e32 v84, v84, v88
	v_mul_f32_e32 v88, 0xbf7ee86f, v54
	v_add_f32_e32 v86, v86, v90
	v_fma_f32 v90, v60, s14, -v55
	v_mul_f32_e32 v54, 0xbf06c442, v54
	v_fmac_f32_e32 v55, 0xbf59a7d5, v60
	v_add_f32_e32 v87, v87, v91
	v_mov_b32_e32 v91, v54
	v_add_f32_e32 v53, v55, v53
	v_fma_f32 v54, v61, s14, -v54
	v_add_f32_e32 v55, v51, v13
	v_sub_f32_e32 v13, v13, v51
	v_add_f32_e32 v52, v54, v52
	v_add_f32_e32 v54, v50, v12
	v_sub_f32_e32 v12, v12, v50
	v_mul_f32_e32 v50, 0xbf7ee86f, v13
	v_fma_f32 v51, v54, s5, -v50
	v_fmac_f32_e32 v85, 0x3f6eb680, v61
	v_add_f32_e32 v51, v51, v57
	v_mul_f32_e32 v57, 0xbf7ee86f, v12
	v_fmac_f32_e32 v50, 0x3dbcf732, v54
	v_add_f32_e32 v85, v85, v89
	v_mov_b32_e32 v89, v88
	v_mov_b32_e32 v60, v57
	v_add_f32_e32 v50, v50, v56
	v_fma_f32 v56, v55, s5, -v57
	v_mul_f32_e32 v57, 0xbe3c28d5, v13
	v_fmac_f32_e32 v89, 0x3dbcf732, v61
	v_fma_f32 v88, v61, s5, -v88
	v_fmac_f32_e32 v91, 0xbf59a7d5, v61
	v_fmac_f32_e32 v60, 0x3dbcf732, v55
	v_add_f32_e32 v56, v56, v58
	v_fma_f32 v58, v54, s15, -v57
	v_mul_f32_e32 v61, 0xbe3c28d5, v12
	v_fmac_f32_e32 v57, 0xbf7ba420, v54
	v_add_f32_e32 v60, v60, v62
	v_mov_b32_e32 v62, v61
	v_add_f32_e32 v57, v57, v59
	v_fma_f32 v59, v55, s15, -v61
	v_mul_f32_e32 v61, 0x3f763a35, v13
	v_add_f32_e32 v58, v58, v63
	v_fma_f32 v63, v54, s12, -v61
	v_fmac_f32_e32 v61, 0xbe8c1d8e, v54
	v_fmac_f32_e32 v62, 0xbf7ba420, v55
	v_add_f32_e32 v59, v59, v68
	v_mul_f32_e32 v68, 0x3f763a35, v12
	v_add_f32_e32 v61, v61, v69
	v_mul_f32_e32 v69, 0x3eb8f4ab, v13
	v_add_f32_e32 v62, v62, v70
	v_add_f32_e32 v63, v63, v71
	v_mov_b32_e32 v70, v68
	v_fma_f32 v68, v55, s12, -v68
	v_fma_f32 v71, v54, s0, -v69
	v_fmac_f32_e32 v69, 0x3f6eb680, v54
	v_fmac_f32_e32 v70, 0xbe8c1d8e, v55
	v_add_f32_e32 v68, v68, v72
	v_mul_f32_e32 v72, 0x3eb8f4ab, v12
	v_add_f32_e32 v69, v69, v74
	v_mul_f32_e32 v74, 0xbf65296c, v13
	v_add_f32_e32 v70, v70, v73
	v_add_f32_e32 v71, v71, v75
	v_mov_b32_e32 v73, v72
	v_fma_f32 v72, v55, s0, -v72
	;; [unrolled: 11-line block ×4, first 2 shown]
	v_fma_f32 v83, v54, s13, -v82
	v_fmac_f32_e32 v82, 0xbf1a4643, v54
	v_mul_f32_e32 v13, 0x3f2c7751, v13
	v_add_f32_e32 v80, v80, v84
	v_mul_f32_e32 v84, 0x3f4c4adb, v12
	v_add_f32_e32 v82, v82, v86
	v_fma_f32 v86, v54, s1, -v13
	v_mul_f32_e32 v12, 0x3f2c7751, v12
	v_fmac_f32_e32 v13, 0x3f3d2fb0, v54
	v_add_f32_e32 v83, v83, v87
	v_mov_b32_e32 v87, v12
	v_add_f32_e32 v13, v13, v53
	v_fma_f32 v12, v55, s1, -v12
	v_add_f32_e32 v53, v49, v15
	v_sub_f32_e32 v15, v15, v49
	v_add_f32_e32 v12, v12, v52
	v_add_f32_e32 v52, v48, v14
	v_sub_f32_e32 v14, v14, v48
	v_mul_f32_e32 v48, 0xbf763a35, v15
	v_fma_f32 v49, v52, s12, -v48
	v_fmac_f32_e32 v81, 0xbf59a7d5, v55
	v_add_f32_e32 v49, v49, v51
	v_mul_f32_e32 v51, 0xbf763a35, v14
	v_fmac_f32_e32 v48, 0xbe8c1d8e, v52
	v_add_f32_e32 v81, v81, v85
	v_mov_b32_e32 v85, v84
	v_mov_b32_e32 v54, v51
	v_add_f32_e32 v48, v48, v50
	v_fma_f32 v50, v53, s12, -v51
	v_mul_f32_e32 v51, 0x3f06c442, v15
	v_fmac_f32_e32 v85, 0xbf1a4643, v55
	v_fma_f32 v84, v55, s13, -v84
	v_fmac_f32_e32 v87, 0x3f3d2fb0, v55
	v_add_f32_e32 v50, v50, v56
	v_fma_f32 v55, v52, s14, -v51
	v_mul_f32_e32 v56, 0x3f06c442, v14
	v_fmac_f32_e32 v51, 0xbf59a7d5, v52
	v_add_f32_e32 v55, v55, v58
	v_mov_b32_e32 v58, v56
	v_add_f32_e32 v51, v51, v57
	v_fma_f32 v56, v53, s14, -v56
	v_mul_f32_e32 v57, 0x3f2c7751, v15
	v_fmac_f32_e32 v54, 0xbe8c1d8e, v53
	v_add_f32_e32 v56, v56, v59
	v_fma_f32 v59, v52, s1, -v57
	v_fmac_f32_e32 v57, 0x3f3d2fb0, v52
	v_add_f32_e32 v54, v54, v60
	v_fmac_f32_e32 v58, 0xbf59a7d5, v53
	v_mul_f32_e32 v60, 0x3f2c7751, v14
	v_add_f32_e32 v57, v57, v61
	v_mul_f32_e32 v61, 0xbf65296c, v15
	v_add_f32_e32 v58, v58, v62
	v_add_f32_e32 v59, v59, v63
	v_mov_b32_e32 v62, v60
	v_fma_f32 v60, v53, s1, -v60
	v_fma_f32 v63, v52, s4, -v61
	v_fmac_f32_e32 v61, 0x3ee437d1, v52
	v_fmac_f32_e32 v62, 0x3f3d2fb0, v53
	v_add_f32_e32 v60, v60, v68
	v_mul_f32_e32 v68, 0xbf65296c, v14
	v_add_f32_e32 v61, v61, v69
	v_mul_f32_e32 v69, 0xbe3c28d5, v15
	v_add_f32_e32 v62, v62, v70
	v_add_f32_e32 v63, v63, v71
	v_mov_b32_e32 v70, v68
	v_fma_f32 v68, v53, s4, -v68
	v_fma_f32 v71, v52, s15, -v69
	v_fmac_f32_e32 v69, 0xbf7ba420, v52
	v_fmac_f32_e32 v70, 0x3ee437d1, v53
	v_add_f32_e32 v68, v68, v72
	;; [unrolled: 11-line block ×3, first 2 shown]
	v_mul_f32_e32 v76, 0x3f7ee86f, v14
	v_add_f32_e32 v74, v74, v78
	v_mul_f32_e32 v78, 0xbeb8f4ab, v15
	v_add_f32_e32 v73, v73, v77
	v_add_f32_e32 v75, v75, v79
	v_mov_b32_e32 v77, v76
	v_fma_f32 v76, v53, s5, -v76
	v_fma_f32 v79, v52, s0, -v78
	v_fmac_f32_e32 v78, 0x3f6eb680, v52
	v_mul_f32_e32 v15, 0xbf4c4adb, v15
	v_add_f32_e32 v76, v76, v80
	v_mul_f32_e32 v80, 0xbeb8f4ab, v14
	v_add_f32_e32 v78, v78, v82
	v_fma_f32 v82, v52, s13, -v15
	v_mul_f32_e32 v14, 0xbf4c4adb, v14
	v_fmac_f32_e32 v15, 0xbf1a4643, v52
	v_add_f32_e32 v79, v79, v83
	v_mov_b32_e32 v83, v14
	v_add_f32_e32 v13, v15, v13
	v_fma_f32 v14, v53, s13, -v14
	v_add_f32_e32 v15, v11, v5
	v_sub_f32_e32 v5, v5, v11
	v_add_f32_e32 v12, v14, v12
	v_add_f32_e32 v14, v10, v4
	v_sub_f32_e32 v4, v4, v10
	v_mul_f32_e32 v10, 0xbf4c4adb, v5
	v_fma_f32 v11, v14, s13, -v10
	v_fmac_f32_e32 v77, 0x3dbcf732, v53
	v_add_f32_e32 v11, v11, v49
	v_mul_f32_e32 v49, 0xbf4c4adb, v4
	v_fmac_f32_e32 v10, 0xbf1a4643, v14
	v_add_f32_e32 v77, v77, v81
	v_mov_b32_e32 v81, v80
	v_mov_b32_e32 v52, v49
	v_add_f32_e32 v10, v10, v48
	v_fma_f32 v48, v15, s13, -v49
	v_mul_f32_e32 v49, 0x3f763a35, v5
	v_fmac_f32_e32 v81, 0x3f6eb680, v53
	v_fma_f32 v80, v53, s0, -v80
	v_fmac_f32_e32 v83, 0xbf1a4643, v53
	v_fmac_f32_e32 v52, 0xbf1a4643, v15
	v_add_f32_e32 v48, v48, v50
	v_fma_f32 v50, v14, s12, -v49
	v_mul_f32_e32 v53, 0x3f763a35, v4
	v_fmac_f32_e32 v49, 0xbe8c1d8e, v14
	v_add_f32_e32 v52, v52, v54
	v_mov_b32_e32 v54, v53
	v_add_f32_e32 v49, v49, v51
	v_fma_f32 v51, v15, s12, -v53
	v_mul_f32_e32 v53, 0xbeb8f4ab, v5
	v_add_f32_e32 v50, v50, v55
	v_fma_f32 v55, v14, s0, -v53
	v_fmac_f32_e32 v53, 0x3f6eb680, v14
	v_fmac_f32_e32 v54, 0xbe8c1d8e, v15
	v_add_f32_e32 v51, v51, v56
	v_mul_f32_e32 v56, 0xbeb8f4ab, v4
	v_add_f32_e32 v53, v53, v57
	v_mul_f32_e32 v57, 0xbf06c442, v5
	v_add_f32_e32 v54, v54, v58
	v_add_f32_e32 v55, v55, v59
	v_mov_b32_e32 v58, v56
	v_fma_f32 v56, v15, s0, -v56
	v_fma_f32 v59, v14, s14, -v57
	v_fmac_f32_e32 v57, 0xbf59a7d5, v14
	v_fmac_f32_e32 v58, 0x3f6eb680, v15
	v_add_f32_e32 v56, v56, v60
	v_mul_f32_e32 v60, 0xbf06c442, v4
	v_add_f32_e32 v57, v57, v61
	v_mul_f32_e32 v61, 0x3f7ee86f, v5
	v_add_f32_e32 v58, v58, v62
	v_add_f32_e32 v59, v59, v63
	v_mov_b32_e32 v62, v60
	v_fma_f32 v60, v15, s14, -v60
	v_fma_f32 v63, v14, s5, -v61
	v_fmac_f32_e32 v61, 0x3dbcf732, v14
	v_fmac_f32_e32 v62, 0xbf59a7d5, v15
	v_add_f32_e32 v60, v60, v68
	v_mul_f32_e32 v68, 0x3f7ee86f, v4
	v_add_f32_e32 v61, v61, v69
	v_mul_f32_e32 v69, 0xbf2c7751, v5
	v_add_f32_e32 v62, v62, v70
	v_add_f32_e32 v63, v63, v71
	v_mov_b32_e32 v70, v68
	v_fma_f32 v68, v15, s5, -v68
	v_fma_f32 v71, v14, s1, -v69
	v_fmac_f32_e32 v69, 0x3f3d2fb0, v14
	v_fmac_f32_e32 v70, 0x3dbcf732, v15
	v_add_f32_e32 v68, v68, v72
	v_mul_f32_e32 v72, 0xbf2c7751, v4
	v_add_f32_e32 v69, v69, v74
	v_mul_f32_e32 v74, 0xbe3c28d5, v5
	v_add_f32_e32 v70, v70, v73
	v_add_f32_e32 v71, v71, v75
	v_mov_b32_e32 v73, v72
	v_fma_f32 v72, v15, s1, -v72
	v_fma_f32 v75, v14, s15, -v74
	v_fmac_f32_e32 v74, 0xbf7ba420, v14
	v_mul_f32_e32 v5, 0x3f65296c, v5
	v_add_f32_e32 v72, v72, v76
	v_mul_f32_e32 v76, 0xbe3c28d5, v4
	v_add_f32_e32 v74, v74, v78
	v_fma_f32 v78, v14, s4, -v5
	v_mul_f32_e32 v4, 0x3f65296c, v4
	v_fmac_f32_e32 v5, 0x3ee437d1, v14
	v_add_f32_e32 v75, v75, v79
	v_mov_b32_e32 v79, v4
	v_add_f32_e32 v5, v5, v13
	v_fma_f32 v4, v15, s4, -v4
	v_add_f32_e32 v13, v9, v7
	v_sub_f32_e32 v7, v7, v9
	v_add_f32_e32 v4, v4, v12
	v_add_f32_e32 v12, v8, v6
	v_sub_f32_e32 v6, v6, v8
	v_mul_f32_e32 v8, 0xbf06c442, v7
	v_fma_f32 v9, v12, s14, -v8
	v_fmac_f32_e32 v73, 0x3f3d2fb0, v15
	v_add_f32_e32 v9, v9, v11
	v_mul_f32_e32 v11, 0xbf06c442, v6
	v_fmac_f32_e32 v8, 0xbf59a7d5, v12
	v_add_f32_e32 v73, v73, v77
	v_mov_b32_e32 v77, v76
	v_mov_b32_e32 v14, v11
	v_add_f32_e32 v8, v8, v10
	v_fma_f32 v10, v13, s14, -v11
	v_mul_f32_e32 v11, 0x3f65296c, v7
	v_fmac_f32_e32 v77, 0xbf7ba420, v15
	v_fma_f32 v76, v15, s15, -v76
	v_fmac_f32_e32 v79, 0x3ee437d1, v15
	v_add_f32_e32 v10, v10, v48
	v_fma_f32 v15, v12, s4, -v11
	v_mul_f32_e32 v48, 0x3f65296c, v6
	v_add_f32_e32 v92, v92, v96
	v_add_f32_e32 v15, v15, v50
	v_mov_b32_e32 v50, v48
	v_fma_f32 v48, v13, s4, -v48
	v_add_f32_e32 v88, v88, v92
	v_fmac_f32_e32 v11, 0x3ee437d1, v12
	v_add_f32_e32 v51, v48, v51
	v_mul_f32_e32 v48, 0xbf7ee86f, v7
	v_add_f32_e32 v84, v84, v88
	v_fmac_f32_e32 v14, 0xbf59a7d5, v13
	v_add_f32_e32 v11, v11, v49
	v_fma_f32 v49, v12, s5, -v48
	v_add_f32_e32 v80, v80, v84
	v_add_f32_e32 v14, v14, v52
	;; [unrolled: 1-line block ×3, first 2 shown]
	v_mul_f32_e32 v49, 0xbf7ee86f, v6
	v_fmac_f32_e32 v48, 0x3dbcf732, v12
	v_add_f32_e32 v76, v76, v80
	v_add_f32_e32 v80, v48, v53
	v_fma_f32 v48, v13, s5, -v49
	v_fmac_f32_e32 v50, 0x3ee437d1, v13
	v_add_f32_e32 v56, v48, v56
	v_mul_f32_e32 v48, 0x3f4c4adb, v7
	v_add_f32_e32 v50, v50, v54
	v_mov_b32_e32 v54, v49
	v_fma_f32 v49, v12, s13, -v48
	v_add_f32_e32 v59, v49, v59
	v_mul_f32_e32 v49, 0x3f4c4adb, v6
	v_fmac_f32_e32 v48, 0xbf1a4643, v12
	v_add_f32_e32 v57, v48, v57
	v_fma_f32 v48, v13, s13, -v49
	v_add_f32_e32 v60, v48, v60
	v_mul_f32_e32 v48, 0xbeb8f4ab, v7
	v_mov_b32_e32 v53, v49
	v_fma_f32 v49, v12, s0, -v48
	v_add_f32_e32 v63, v49, v63
	v_mul_f32_e32 v49, 0xbeb8f4ab, v6
	v_fmac_f32_e32 v48, 0x3f6eb680, v12
	v_add_f32_e32 v61, v48, v61
	v_fma_f32 v48, v13, s0, -v49
	v_fmac_f32_e32 v53, 0xbf1a4643, v13
	v_add_f32_e32 v68, v48, v68
	v_mul_f32_e32 v48, 0xbe3c28d5, v7
	v_add_f32_e32 v62, v53, v62
	v_mov_b32_e32 v53, v49
	v_fma_f32 v49, v12, s15, -v48
	v_add_f32_e32 v71, v49, v71
	v_mul_f32_e32 v49, 0xbe3c28d5, v6
	v_fmac_f32_e32 v48, 0xbf7ba420, v12
	v_add_f32_e32 v69, v48, v69
	v_fma_f32 v48, v13, s15, -v49
	v_add_f32_e32 v94, v94, v98
	v_add_f32_e32 v95, v95, v99
	v_fmac_f32_e32 v53, 0x3f6eb680, v13
	v_add_f32_e32 v72, v48, v72
	v_mul_f32_e32 v48, 0x3f2c7751, v7
	v_add_f32_e32 v93, v93, v97
	v_add_f32_e32 v90, v90, v94
	;; [unrolled: 1-line block ×4, first 2 shown]
	v_mov_b32_e32 v53, v49
	v_fma_f32 v49, v12, s1, -v48
	v_add_f32_e32 v89, v89, v93
	v_add_f32_e32 v86, v86, v90
	;; [unrolled: 1-line block ×4, first 2 shown]
	v_mul_f32_e32 v49, 0x3f2c7751, v6
	v_fmac_f32_e32 v48, 0x3f3d2fb0, v12
	v_add_f32_e32 v85, v85, v89
	v_add_f32_e32 v82, v82, v86
	;; [unrolled: 1-line block ×4, first 2 shown]
	v_fma_f32 v48, v13, s1, -v49
	v_mul_f32_e32 v7, 0xbf763a35, v7
	v_sub_f32_e32 v86, v1, v3
	v_add_f32_e32 v81, v81, v85
	v_add_f32_e32 v78, v78, v82
	v_add_f32_e32 v79, v79, v83
	v_add_f32_e32 v76, v48, v76
	v_fma_f32 v48, v12, s12, -v7
	v_mul_f32_e32 v6, 0xbf763a35, v6
	v_add_f32_e32 v83, v2, v0
	v_sub_f32_e32 v85, v0, v2
	v_mul_f32_e32 v0, 0xbe3c28d5, v86
	v_fmac_f32_e32 v54, 0x3dbcf732, v13
	v_add_f32_e32 v78, v48, v78
	v_mov_b32_e32 v48, v6
	v_add_f32_e32 v84, v3, v1
	v_fma_f32 v1, v83, s15, -v0
	v_add_f32_e32 v58, v54, v58
	v_fmac_f32_e32 v48, 0xbe8c1d8e, v13
	v_add_f32_e32 v54, v1, v9
	v_mul_f32_e32 v1, 0xbe3c28d5, v85
	v_fmac_f32_e32 v0, 0xbf7ba420, v83
	v_fmac_f32_e32 v53, 0xbf7ba420, v13
	v_add_f32_e32 v79, v48, v79
	v_add_f32_e32 v48, v0, v8
	v_fma_f32 v0, v84, s15, -v1
	v_add_f32_e32 v73, v53, v73
	v_mov_b32_e32 v53, v49
	v_add_f32_e32 v49, v0, v10
	v_mul_f32_e32 v0, 0x3eb8f4ab, v86
	v_mov_b32_e32 v2, v1
	v_fma_f32 v1, v83, s0, -v0
	v_fmac_f32_e32 v7, 0xbe8c1d8e, v12
	v_fmac_f32_e32 v2, 0xbf7ba420, v84
	v_add_f32_e32 v12, v1, v15
	v_mul_f32_e32 v1, 0x3eb8f4ab, v85
	v_add_f32_e32 v55, v2, v14
	v_mov_b32_e32 v2, v1
	v_fmac_f32_e32 v2, 0x3f6eb680, v84
	v_add_f32_e32 v77, v77, v81
	v_fmac_f32_e32 v53, 0x3f3d2fb0, v13
	v_add_f32_e32 v81, v7, v5
	v_fma_f32 v5, v13, s12, -v6
	v_add_f32_e32 v13, v2, v50
	v_mul_f32_e32 v2, 0xbf06c442, v86
	v_fma_f32 v3, v83, s14, -v2
	v_add_f32_e32 v52, v3, v52
	v_mul_f32_e32 v3, 0xbf06c442, v85
	v_add_f32_e32 v82, v5, v4
	v_mov_b32_e32 v4, v3
	v_fmac_f32_e32 v4, 0xbf59a7d5, v84
	v_add_f32_e32 v77, v53, v77
	v_add_f32_e32 v53, v4, v58
	v_mul_f32_e32 v4, 0x3f2c7751, v86
	v_fma_f32 v5, v83, s1, -v4
	v_add_f32_e32 v50, v5, v59
	v_mul_f32_e32 v5, 0x3f2c7751, v85
	v_mov_b32_e32 v6, v5
	v_fma_f32 v1, v84, s0, -v1
	v_fmac_f32_e32 v6, 0x3f3d2fb0, v84
	v_add_f32_e32 v1, v1, v51
	v_add_f32_e32 v51, v6, v62
	v_mul_f32_e32 v6, 0xbf4c4adb, v86
	v_fma_f32 v7, v83, s13, -v6
	v_add_f32_e32 v58, v7, v63
	v_mul_f32_e32 v7, 0xbf4c4adb, v85
	v_mov_b32_e32 v8, v7
	v_fma_f32 v7, v84, s13, -v7
	v_add_f32_e32 v7, v7, v68
	s_waitcnt lgkmcnt(0)
	; wave barrier
	buffer_load_dword v68, off, s[20:23], 0 ; 4-byte Folded Reload
	v_fmac_f32_e32 v8, 0xbf1a4643, v84
	v_add_f32_e32 v59, v8, v70
	v_mul_f32_e32 v8, 0x3f65296c, v86
	v_fma_f32 v9, v83, s4, -v8
	v_add_f32_e32 v14, v9, v71
	v_mul_f32_e32 v9, 0x3f65296c, v85
	v_mov_b32_e32 v10, v9
	v_fmac_f32_e32 v10, 0x3ee437d1, v84
	v_fmac_f32_e32 v8, 0x3ee437d1, v83
	v_sub_f32_e32 v96, v19, v65
	v_fmac_f32_e32 v0, 0x3f6eb680, v83
	v_add_f32_e32 v15, v10, v73
	v_add_f32_e32 v8, v8, v69
	v_mul_f32_e32 v10, 0xbf763a35, v86
	v_mul_f32_e32 v69, 0xbeb8f4ab, v96
	v_add_f32_e32 v0, v0, v11
	v_fma_f32 v3, v84, s14, -v3
	v_fma_f32 v11, v83, s12, -v10
	v_add_f32_e32 v89, v64, v18
	v_sub_f32_e32 v95, v18, v64
	v_mov_b32_e32 v70, v69
	v_add_f32_e32 v3, v3, v56
	v_fmac_f32_e32 v4, 0x3f3d2fb0, v83
	v_add_f32_e32 v56, v11, v75
	v_mul_f32_e32 v11, 0xbf763a35, v85
	v_add_f32_e32 v90, v65, v19
	v_mul_f32_e32 v71, 0xbeb8f4ab, v95
	v_fmac_f32_e32 v70, 0x3f6eb680, v89
	v_sub_f32_e32 v100, v29, v47
	v_fmac_f32_e32 v2, 0xbf59a7d5, v83
	v_add_f32_e32 v4, v4, v57
	v_mov_b32_e32 v57, v11
	v_fma_f32 v11, v84, s12, -v11
	v_add_f32_e32 v75, v70, v16
	v_fma_f32 v70, v90, s0, -v71
	v_mul_f32_e32 v161, 0xbf2c7751, v100
	v_sub_f32_e32 v104, v31, v45
	v_add_f32_e32 v2, v2, v80
	v_fmac_f32_e32 v6, 0xbf1a4643, v83
	v_fma_f32 v9, v84, s4, -v9
	v_add_f32_e32 v11, v11, v76
	v_mul_f32_e32 v63, 0x3f7ee86f, v85
	v_add_f32_e32 v76, v70, v17
	v_mul_f32_e32 v70, 0xbf2c7751, v96
	v_add_f32_e32 v91, v46, v28
	v_sub_f32_e32 v99, v28, v46
	v_mov_b32_e32 v80, v161
	v_mul_f32_e32 v157, 0xbf65296c, v104
	v_fma_f32 v5, v84, s1, -v5
	v_add_f32_e32 v6, v6, v61
	v_add_f32_e32 v9, v9, v72
	v_mul_f32_e32 v62, 0x3f7ee86f, v86
	v_mov_b32_e32 v61, v63
	v_fma_f32 v63, v84, s5, -v63
	v_mov_b32_e32 v72, v70
	v_add_f32_e32 v92, v47, v29
	v_mul_f32_e32 v136, 0xbf2c7751, v99
	v_fmac_f32_e32 v80, 0x3f3d2fb0, v91
	v_mul_f32_e32 v162, 0xbf7ee86f, v100
	v_add_f32_e32 v93, v44, v30
	v_sub_f32_e32 v103, v30, v44
	v_mov_b32_e32 v85, v157
	v_add_f32_e32 v5, v5, v60
	v_fmac_f32_e32 v57, 0xbe8c1d8e, v84
	v_fmac_f32_e32 v10, 0xbe8c1d8e, v83
	v_fma_f32 v60, v83, s5, -v62
	v_fmac_f32_e32 v62, 0x3dbcf732, v83
	v_add_f32_e32 v63, v63, v82
	v_mul_f32_e32 v155, 0xbf2c7751, v95
	v_fmac_f32_e32 v72, 0x3f3d2fb0, v89
	v_add_f32_e32 v80, v80, v75
	v_fma_f32 v75, v92, s1, -v136
	v_mov_b32_e32 v82, v162
	v_add_f32_e32 v94, v45, v31
	v_mul_f32_e32 v169, 0xbf65296c, v103
	v_fmac_f32_e32 v85, 0x3ee437d1, v93
	v_mul_f32_e32 v158, 0xbf4c4adb, v104
	v_add_f32_e32 v57, v57, v77
	v_add_f32_e32 v10, v10, v74
	;; [unrolled: 1-line block ×4, first 2 shown]
	v_fma_f32 v72, v90, s1, -v155
	v_mul_f32_e32 v74, 0xbf65296c, v96
	v_add_f32_e32 v81, v75, v76
	v_mul_f32_e32 v159, 0xbf7ee86f, v99
	v_fmac_f32_e32 v82, 0x3dbcf732, v91
	v_add_f32_e32 v85, v85, v80
	v_fma_f32 v80, v94, s4, -v169
	v_mov_b32_e32 v87, v158
	v_sub_f32_e32 v107, v33, v43
	v_add_f32_e32 v60, v60, v78
	v_add_f32_e32 v78, v72, v17
	v_mov_b32_e32 v72, v74
	v_add_f32_e32 v82, v82, v77
	v_fma_f32 v77, v92, s5, -v159
	v_mul_f32_e32 v160, 0xbf4c4adb, v100
	v_add_f32_e32 v86, v80, v81
	v_mul_f32_e32 v81, 0xbf4c4adb, v103
	v_fmac_f32_e32 v87, 0xbf1a4643, v93
	v_mul_f32_e32 v170, 0xbf7ee86f, v107
	v_fmac_f32_e32 v61, 0x3dbcf732, v84
	v_fmac_f32_e32 v72, 0x3ee437d1, v89
	v_add_f32_e32 v83, v77, v78
	v_mov_b32_e32 v77, v160
	v_add_f32_e32 v87, v87, v82
	v_fma_f32 v82, v94, s13, -v81
	v_mul_f32_e32 v171, 0x3e3c28d5, v104
	v_add_f32_e32 v97, v42, v32
	v_mov_b32_e32 v102, v170
	v_add_f32_e32 v61, v61, v79
	v_add_f32_e32 v79, v72, v16
	v_fmac_f32_e32 v77, 0xbf1a4643, v91
	v_add_f32_e32 v88, v82, v83
	v_mov_b32_e32 v82, v171
	v_fmac_f32_e32 v102, 0x3dbcf732, v97
	v_mul_f32_e32 v167, 0xbe3c28d5, v107
	v_add_f32_e32 v84, v77, v79
	v_fmac_f32_e32 v82, 0xbf7ba420, v93
	v_sub_f32_e32 v105, v32, v42
	v_add_f32_e32 v108, v102, v85
	v_mov_b32_e32 v102, v167
	v_add_f32_e32 v101, v82, v84
	v_add_f32_e32 v98, v43, v33
	v_mul_f32_e32 v84, 0xbe3c28d5, v105
	v_fmac_f32_e32 v102, 0xbf7ba420, v97
	v_add_f32_e32 v110, v102, v87
	v_fma_f32 v87, v98, s15, -v84
	v_mul_f32_e32 v168, 0x3f763a35, v107
	v_mul_lo_u16_e32 v115, 17, v154
	v_add_f32_e32 v111, v87, v88
	v_mov_b32_e32 v87, v168
	v_sub_f32_e32 v113, v35, v41
	s_waitcnt vmcnt(0)
	v_lshl_add_u32 v184, v115, 3, v68
	v_fmac_f32_e32 v87, 0xbe8c1d8e, v97
	v_mul_f32_e32 v173, 0xbf763a35, v113
	ds_write2_b64 v184, v[12:13], v[52:53] offset0:2 offset1:3
	v_sub_f32_e32 v13, v37, v27
	v_mul_f32_e32 v82, 0xbf7ee86f, v105
	v_add_f32_e32 v114, v87, v101
	v_add_f32_e32 v101, v40, v34
	v_sub_f32_e32 v112, v34, v40
	ds_write2_b64 v184, v[66:67], v[54:55] offset1:1
	v_mov_b32_e32 v55, v173
	ds_write2_b64 v184, v[50:51], v[58:59] offset0:4 offset1:5
	v_mul_f32_e32 v50, 0xbf4c4adb, v13
	v_fma_f32 v85, v98, s5, -v82
	v_add_f32_e32 v102, v41, v35
	v_mul_f32_e32 v54, 0xbf763a35, v112
	v_fmac_f32_e32 v55, 0xbe8c1d8e, v101
	v_add_f32_e32 v130, v26, v36
	v_mov_b32_e32 v51, v50
	v_add_f32_e32 v109, v85, v86
	v_add_f32_e32 v108, v55, v108
	v_fma_f32 v55, v102, s12, -v54
	v_sub_f32_e32 v12, v36, v26
	v_fmac_f32_e32 v51, 0xbf1a4643, v130
	v_add_f32_e32 v109, v55, v109
	v_mul_f32_e32 v55, 0x3f06c442, v113
	v_add_f32_e32 v131, v27, v37
	v_add_f32_e32 v59, v51, v108
	v_mul_f32_e32 v51, 0xbf4c4adb, v12
	v_mov_b32_e32 v67, v55
	v_fma_f32 v52, v131, s13, -v51
	v_mul_f32_e32 v53, 0x3f763a35, v13
	v_mul_f32_e32 v66, 0x3f06c442, v112
	v_fmac_f32_e32 v67, 0xbf59a7d5, v101
	v_add_f32_e32 v108, v52, v109
	v_mov_b32_e32 v52, v53
	v_add_f32_e32 v110, v67, v110
	v_fma_f32 v67, v102, s14, -v66
	v_fmac_f32_e32 v52, 0xbe8c1d8e, v130
	v_mul_f32_e32 v58, 0x3f763a35, v12
	v_add_f32_e32 v111, v67, v111
	v_add_f32_e32 v109, v52, v110
	v_fma_f32 v52, v131, s12, -v58
	ds_write2_b64 v184, v[14:15], v[56:57] offset0:6 offset1:7
	v_sub_f32_e32 v15, v39, v25
	v_add_f32_e32 v110, v52, v111
	v_mul_f32_e32 v52, 0xbf06c442, v15
	v_add_f32_e32 v125, v24, v38
	v_sub_f32_e32 v14, v38, v24
	v_mov_b32_e32 v57, v52
	v_add_f32_e32 v129, v25, v39
	v_mul_f32_e32 v56, 0xbf06c442, v14
	v_fmac_f32_e32 v57, 0xbf59a7d5, v125
	ds_write2_b64 v184, v[60:61], v[62:63] offset0:8 offset1:9
	v_add_f32_e32 v60, v57, v59
	v_fma_f32 v57, v129, s14, -v56
	v_mul_f32_e32 v59, 0x3f65296c, v15
	v_add_f32_e32 v63, v57, v108
	v_mov_b32_e32 v57, v59
	v_fmac_f32_e32 v57, 0x3ee437d1, v125
	v_mul_f32_e32 v62, 0x3f65296c, v14
	v_add_f32_e32 v109, v57, v109
	v_fma_f32 v57, v129, s4, -v62
	v_sub_f32_e32 v236, v21, v23
	v_add_f32_e32 v110, v57, v110
	v_mul_f32_e32 v57, 0xbe3c28d5, v236
	v_add_f32_e32 v126, v22, v20
	v_sub_f32_e32 v182, v20, v22
	ds_write2_b64 v184, v[6:7], v[4:5] offset0:12 offset1:13
	v_mov_b32_e32 v4, v57
	v_add_f32_e32 v127, v23, v21
	v_mul_f32_e32 v61, 0xbe3c28d5, v182
	v_fmac_f32_e32 v4, 0xbf7ba420, v126
	v_add_f32_e32 v150, v4, v60
	v_fma_f32 v4, v127, s15, -v61
	v_add_f32_e32 v151, v4, v63
	v_mul_f32_e32 v63, 0x3eb8f4ab, v236
	ds_write2_b64 v184, v[2:3], v[0:1] offset0:14 offset1:15
	v_mov_b32_e32 v0, v63
	v_mul_f32_e32 v67, 0x3f2c7751, v113
	v_mul_f32_e32 v108, 0x3eb8f4ab, v182
	v_fmac_f32_e32 v0, 0x3f6eb680, v126
	v_mov_b32_e32 v115, v67
	v_add_f32_e32 v2, v0, v109
	v_fma_f32 v0, v127, s0, -v108
	v_mul_f32_e32 v109, 0xbeb8f4ab, v13
	v_fmac_f32_e32 v115, 0x3f3d2fb0, v101
	v_add_f32_e32 v3, v0, v110
	v_mov_b32_e32 v0, v109
	v_mul_f32_e32 v110, 0xbf7ee86f, v15
	v_add_f32_e32 v114, v115, v114
	v_fmac_f32_e32 v0, 0x3f6eb680, v130
	v_mov_b32_e32 v1, v110
	v_add_f32_e32 v0, v0, v114
	v_fmac_f32_e32 v1, 0x3dbcf732, v125
	v_mul_f32_e32 v111, 0xbf06c442, v236
	v_add_f32_e32 v0, v1, v0
	v_mov_b32_e32 v1, v111
	v_fmac_f32_e32 v1, 0xbf59a7d5, v126
	v_mul_f32_e32 v114, 0xbf65296c, v95
	v_add_f32_e32 v0, v1, v0
	v_fma_f32 v1, v90, s4, -v114
	v_mul_f32_e32 v115, 0xbf4c4adb, v99
	v_add_f32_e32 v1, v1, v17
	v_fma_f32 v4, v92, s13, -v115
	;; [unrolled: 3-line block ×8, first 2 shown]
	v_mul_f32_e32 v122, 0xbf7ee86f, v96
	v_add_f32_e32 v1, v4, v1
	v_mov_b32_e32 v4, v122
	v_mul_f32_e32 v123, 0xbe3c28d5, v100
	v_fmac_f32_e32 v4, 0x3dbcf732, v89
	v_mov_b32_e32 v5, v123
	v_add_f32_e32 v4, v4, v16
	v_fmac_f32_e32 v5, 0xbf7ba420, v91
	v_mul_f32_e32 v133, 0xbf7ee86f, v95
	v_add_f32_e32 v4, v5, v4
	v_fma_f32 v5, v90, s5, -v133
	v_mul_f32_e32 v134, 0xbe3c28d5, v99
	v_add_f32_e32 v5, v5, v17
	v_fma_f32 v6, v92, s15, -v134
	v_mul_f32_e32 v124, 0x3f763a35, v104
	v_add_f32_e32 v5, v6, v5
	v_mov_b32_e32 v6, v124
	v_fmac_f32_e32 v6, 0xbe8c1d8e, v93
	v_mul_f32_e32 v175, 0x3f763a35, v103
	v_add_f32_e32 v4, v6, v4
	v_fma_f32 v6, v94, s12, -v175
	v_mul_f32_e32 v128, 0x3eb8f4ab, v107
	v_add_f32_e32 v5, v6, v5
	v_mov_b32_e32 v6, v128
	v_fmac_f32_e32 v6, 0x3f6eb680, v97
	;; [unrolled: 7-line block ×6, first 2 shown]
	v_mul_f32_e32 v187, 0x3f2c7751, v182
	v_mul_f32_e32 v188, 0xbf763a35, v96
	v_fma_f32 v7, v127, s1, -v187
	v_add_f32_e32 v6, v6, v4
	v_mov_b32_e32 v4, v188
	v_mul_f32_e32 v189, 0x3f06c442, v100
	v_add_f32_e32 v7, v7, v5
	v_fmac_f32_e32 v4, 0xbe8c1d8e, v89
	v_mov_b32_e32 v5, v189
	v_add_f32_e32 v4, v4, v16
	v_fmac_f32_e32 v5, 0xbf59a7d5, v91
	v_mul_f32_e32 v190, 0x3f2c7751, v104
	v_add_f32_e32 v4, v5, v4
	v_mov_b32_e32 v5, v190
	v_fmac_f32_e32 v5, 0x3f3d2fb0, v93
	v_mul_f32_e32 v191, 0xbf65296c, v107
	v_add_f32_e32 v4, v5, v4
	v_mov_b32_e32 v5, v191
	;; [unrolled: 4-line block ×6, first 2 shown]
	v_fmac_f32_e32 v5, 0xbf1a4643, v126
	v_mul_f32_e32 v196, 0xbf763a35, v95
	v_add_f32_e32 v4, v5, v4
	v_fma_f32 v5, v90, s12, -v196
	v_mul_f32_e32 v197, 0x3f06c442, v99
	ds_write2_b64 v184, v[10:11], v[8:9] offset0:10 offset1:11
	v_add_f32_e32 v5, v5, v17
	v_fma_f32 v8, v92, s14, -v197
	v_mul_f32_e32 v198, 0x3f2c7751, v103
	v_add_f32_e32 v5, v8, v5
	v_fma_f32 v8, v94, s1, -v198
	v_mul_f32_e32 v199, 0xbf65296c, v105
	;; [unrolled: 3-line block ×7, first 2 shown]
	v_add_f32_e32 v5, v8, v5
	v_mov_b32_e32 v8, v204
	v_mul_f32_e32 v205, 0x3f763a35, v100
	v_fmac_f32_e32 v8, 0xbf1a4643, v89
	v_mov_b32_e32 v9, v205
	v_add_f32_e32 v8, v8, v16
	v_fmac_f32_e32 v9, 0xbe8c1d8e, v91
	v_mul_f32_e32 v210, 0xbf4c4adb, v95
	v_add_f32_e32 v8, v9, v8
	v_fma_f32 v9, v90, s13, -v210
	v_mul_f32_e32 v211, 0x3f763a35, v99
	v_add_f32_e32 v9, v9, v17
	v_fma_f32 v10, v92, s12, -v211
	v_mul_f32_e32 v206, 0xbeb8f4ab, v104
	v_add_f32_e32 v9, v10, v9
	v_mov_b32_e32 v10, v206
	v_fmac_f32_e32 v10, 0x3f6eb680, v93
	v_mul_f32_e32 v212, 0xbeb8f4ab, v103
	v_add_f32_e32 v8, v10, v8
	v_fma_f32 v10, v94, s0, -v212
	v_mul_f32_e32 v207, 0xbf06c442, v107
	v_add_f32_e32 v9, v10, v9
	v_mov_b32_e32 v10, v207
	v_fmac_f32_e32 v10, 0xbf59a7d5, v97
	;; [unrolled: 7-line block ×6, first 2 shown]
	v_mul_f32_e32 v219, 0x3f65296c, v182
	v_mul_f32_e32 v227, 0xbf06c442, v96
	v_fma_f32 v11, v127, s4, -v219
	v_add_f32_e32 v10, v10, v8
	v_mov_b32_e32 v8, v227
	v_mul_f32_e32 v226, 0x3f65296c, v100
	v_add_f32_e32 v11, v11, v9
	v_fmac_f32_e32 v8, 0xbf59a7d5, v89
	v_mov_b32_e32 v9, v226
	v_add_f32_e32 v8, v8, v16
	v_fmac_f32_e32 v9, 0x3ee437d1, v91
	v_mul_f32_e32 v225, 0xbf7ee86f, v104
	v_add_f32_e32 v8, v9, v8
	v_mov_b32_e32 v9, v225
	v_fmac_f32_e32 v9, 0x3dbcf732, v93
	v_mul_f32_e32 v224, 0x3f4c4adb, v107
	v_add_f32_e32 v8, v9, v8
	v_mov_b32_e32 v9, v224
	;; [unrolled: 4-line block ×6, first 2 shown]
	v_fmac_f32_e32 v9, 0xbe8c1d8e, v126
	v_mul_f32_e32 v235, 0xbf06c442, v95
	v_add_f32_e32 v8, v9, v8
	v_fma_f32 v9, v90, s14, -v235
	v_mul_f32_e32 v234, 0x3f65296c, v99
	v_add_f32_e32 v9, v9, v17
	v_fma_f32 v60, v92, s4, -v234
	;; [unrolled: 3-line block ×8, first 2 shown]
	v_add_f32_e32 v9, v60, v9
	v_mul_f32_e32 v60, 0xbe3c28d5, v96
	v_fma_f32 v96, v89, s15, -v60
	v_mul_f32_e32 v100, 0x3eb8f4ab, v100
	v_add_f32_e32 v96, v96, v16
	v_fma_f32 v237, v91, s0, -v100
	v_mul_f32_e32 v95, 0xbe3c28d5, v95
	v_add_f32_e32 v96, v237, v96
	v_mov_b32_e32 v237, v95
	v_mul_f32_e32 v99, 0x3eb8f4ab, v99
	v_fmac_f32_e32 v237, 0xbf7ba420, v90
	v_mov_b32_e32 v238, v99
	v_add_f32_e32 v237, v237, v17
	v_fmac_f32_e32 v238, 0x3f6eb680, v92
	v_mul_f32_e32 v104, 0xbf06c442, v104
	v_add_f32_e32 v237, v238, v237
	v_fma_f32 v238, v93, s14, -v104
	v_mul_f32_e32 v103, 0xbf06c442, v103
	v_add_f32_e32 v96, v238, v96
	v_mov_b32_e32 v238, v103
	v_fmac_f32_e32 v238, 0xbf59a7d5, v94
	v_mul_f32_e32 v107, 0x3f2c7751, v107
	v_add_f32_e32 v237, v238, v237
	v_fma_f32 v238, v97, s1, -v107
	v_mul_f32_e32 v105, 0x3f2c7751, v105
	v_add_f32_e32 v96, v238, v96
	v_mov_b32_e32 v238, v105
	;; [unrolled: 7-line block ×3, first 2 shown]
	v_fmac_f32_e32 v238, 0xbf1a4643, v102
	v_add_f32_e32 v237, v238, v237
	v_mul_f32_e32 v238, 0x3f65296c, v13
	v_fma_f32 v13, v130, s4, -v238
	v_add_f32_e32 v13, v13, v96
	v_mul_f32_e32 v96, 0x3f65296c, v12
	v_mov_b32_e32 v12, v96
	v_fmac_f32_e32 v12, 0x3ee437d1, v131
	v_mul_f32_e32 v15, 0xbf763a35, v15
	v_add_f32_e32 v12, v12, v237
	v_fma_f32 v237, v125, s12, -v15
	v_add_f32_e32 v13, v237, v13
	v_mul_f32_e32 v237, 0xbf763a35, v14
	v_mov_b32_e32 v14, v237
	v_mul_f32_e32 v182, 0x3f7ee86f, v182
	v_fmac_f32_e32 v14, 0xbe8c1d8e, v129
	v_mul_f32_e32 v236, 0x3f7ee86f, v236
	v_mov_b32_e32 v239, v182
	v_add_f32_e32 v14, v14, v12
	v_fmac_f32_e32 v239, 0x3dbcf732, v127
	v_fma_f32 v12, v126, s5, -v236
	v_fmac_f32_e32 v60, 0xbf7ba420, v89
	v_add_f32_e32 v12, v12, v13
	v_add_f32_e32 v13, v239, v14
	;; [unrolled: 1-line block ×3, first 2 shown]
	v_fmac_f32_e32 v100, 0x3f6eb680, v91
	v_add_f32_e32 v14, v100, v14
	v_fmac_f32_e32 v104, 0xbf59a7d5, v93
	v_add_f32_e32 v14, v104, v14
	;; [unrolled: 2-line block ×6, first 2 shown]
	v_fma_f32 v15, v90, s15, -v95
	v_add_f32_e32 v15, v15, v17
	v_fma_f32 v60, v92, s0, -v99
	v_add_f32_e32 v15, v60, v15
	;; [unrolled: 2-line block ×7, first 2 shown]
	v_fma_f32 v60, v127, s5, -v182
	v_fmac_f32_e32 v236, 0x3dbcf732, v126
	v_add_f32_e32 v15, v60, v15
	v_add_co_u32_e64 v60, s[0:1], 17, v154
	v_add_f32_e32 v14, v236, v14
	ds_write_b64 v184, v[48:49] offset:128
	v_mul_u32_u24_e32 v48, 17, v60
	buffer_store_dword v48, off, s[20:23], 0 offset:124 ; 4-byte Folded Spill
	s_and_saveexec_b64 s[0:1], vcc
	s_cbranch_execz .LBB0_7
; %bb.6:
	v_mul_f32_e32 v49, 0xbf59a7d5, v90
	v_mov_b32_e32 v85, v150
	v_mul_f32_e32 v100, 0x3f6eb680, v90
	v_mul_f32_e32 v104, 0x3f3d2fb0, v90
	v_mul_f32_e32 v96, 0x3ee437d1, v90
	v_mul_f32_e32 v107, 0x3dbcf732, v90
	v_mul_f32_e32 v113, 0xbe8c1d8e, v90
	v_mul_f32_e32 v237, 0xbf1a4643, v90
	v_mul_f32_e32 v239, 0x3f3d2fb0, v92
	v_mul_f32_e32 v241, 0x3dbcf732, v92
	v_mov_b32_e32 v86, v151
	v_mul_f32_e32 v151, 0xbf1a4643, v92
	v_mul_f32_e32 v245, 0xbf7ba420, v92
	;; [unrolled: 1-line block ×5, first 2 shown]
	v_add_f32_e32 v49, v235, v49
	v_mul_f32_e32 v153, 0x3ee437d1, v94
	v_mul_f32_e32 v251, 0xbf1a4643, v94
	v_mul_f32_e32 v253, 0xbf7ba420, v94
	v_mul_f32_e32 v255, 0xbe8c1d8e, v94
	v_mul_f32_e32 v181, 0x3f3d2fb0, v94
	v_mul_f32_e32 v68, 0x3f6eb680, v94
	v_mul_f32_e32 v94, 0x3dbcf732, v94
	v_add_f32_e32 v92, v234, v92
	v_add_f32_e32 v49, v49, v17
	v_mul_f32_e32 v88, 0x3dbcf732, v98
	v_mul_f32_e32 v72, 0xbf7ba420, v98
	v_mul_f32_e32 v73, 0xbe8c1d8e, v98
	v_mul_f32_e32 v76, 0x3f6eb680, v98
	v_mul_f32_e32 v79, 0x3ee437d1, v98
	v_mul_f32_e32 v80, 0xbf59a7d5, v98
	v_mul_f32_e32 v98, 0xbf1a4643, v98
	v_add_f32_e32 v49, v92, v49
	;; [unrolled: 9-line block ×3, first 2 shown]
	v_add_f32_e32 v92, v232, v98
	v_mul_f32_e32 v48, 0xbf59a7d5, v89
	v_add_f32_e32 v49, v92, v49
	v_add_f32_e32 v102, v231, v102
	v_mul_f32_e32 v174, 0x3f6eb680, v89
	v_mul_f32_e32 v103, 0x3f3d2fb0, v89
	;; [unrolled: 1-line block ×9, first 2 shown]
	v_mov_b32_e32 v99, v136
	v_mul_f32_e32 v136, 0xbf7ba420, v91
	v_mul_f32_e32 v246, 0xbf59a7d5, v91
	;; [unrolled: 1-line block ×9, first 2 shown]
	v_add_f32_e32 v49, v102, v49
	v_mul_f32_e32 v102, 0x3f3d2fb0, v131
	v_mul_f32_e32 v131, 0xbf7ba420, v131
	v_sub_f32_e32 v48, v48, v227
	v_mul_f32_e32 v152, 0x3ee437d1, v93
	v_mul_f32_e32 v250, 0xbf1a4643, v93
	;; [unrolled: 1-line block ×7, first 2 shown]
	v_add_f32_e32 v131, v230, v131
	v_sub_f32_e32 v91, v91, v226
	v_add_f32_e32 v48, v48, v16
	v_mul_f32_e32 v242, 0x3dbcf732, v97
	v_mov_b32_e32 v87, v71
	v_mul_f32_e32 v71, 0xbf7ba420, v97
	v_mul_f32_e32 v156, 0xbe8c1d8e, v97
	;; [unrolled: 1-line block ×6, first 2 shown]
	v_add_f32_e32 v49, v131, v49
	v_mul_f32_e32 v131, 0x3f3d2fb0, v129
	v_add_f32_e32 v48, v91, v48
	v_sub_f32_e32 v91, v93, v225
	v_mul_f32_e32 v163, 0xbe8c1d8e, v101
	v_mul_f32_e32 v172, 0xbf59a7d5, v101
	;; [unrolled: 1-line block ×7, first 2 shown]
	v_add_f32_e32 v131, v229, v131
	v_add_f32_e32 v48, v91, v48
	v_sub_f32_e32 v91, v97, v224
	v_add_f32_e32 v210, v210, v237
	v_mul_f32_e32 v146, 0xbf1a4643, v130
	v_mul_f32_e32 v148, 0xbe8c1d8e, v130
	;; [unrolled: 1-line block ×7, first 2 shown]
	v_add_f32_e32 v49, v131, v49
	v_mul_f32_e32 v131, 0xbe8c1d8e, v127
	v_add_f32_e32 v48, v91, v48
	v_sub_f32_e32 v101, v101, v223
	v_add_f32_e32 v90, v211, v90
	v_add_f32_e32 v210, v210, v17
	v_mul_f32_e32 v230, 0xbf59a7d5, v125
	v_add_f32_e32 v131, v228, v131
	v_mul_f32_e32 v228, 0x3ee437d1, v125
	v_mul_f32_e32 v226, 0x3dbcf732, v125
	v_mul_f32_e32 v93, 0xbf1a4643, v125
	v_mul_f32_e32 v97, 0x3f6eb680, v125
	v_mul_f32_e32 v223, 0xbf7ba420, v125
	v_mul_f32_e32 v125, 0x3f3d2fb0, v125
	v_add_f32_e32 v48, v101, v48
	v_sub_f32_e32 v130, v130, v222
	v_add_f32_e32 v90, v90, v210
	v_add_f32_e32 v68, v212, v68
	;; [unrolled: 1-line block ×3, first 2 shown]
	v_sub_f32_e32 v125, v125, v221
	v_add_f32_e32 v68, v68, v90
	v_add_f32_e32 v80, v214, v80
	;; [unrolled: 1-line block ×3, first 2 shown]
	v_mul_f32_e32 v125, 0xbe8c1d8e, v126
	v_add_f32_e32 v68, v80, v68
	v_add_f32_e32 v80, v216, v83
	v_mul_f32_e32 v229, 0xbf59a7d5, v129
	v_mul_f32_e32 v227, 0x3ee437d1, v129
	;; [unrolled: 1-line block ×6, first 2 shown]
	v_sub_f32_e32 v125, v125, v220
	v_add_f32_e32 v68, v80, v68
	v_add_f32_e32 v80, v217, v102
	v_mul_f32_e32 v222, 0xbf7ba420, v127
	v_mul_f32_e32 v221, 0x3f6eb680, v127
	v_add_f32_e32 v48, v125, v48
	v_mul_f32_e32 v125, 0xbf59a7d5, v127
	v_mul_f32_e32 v224, 0x3f3d2fb0, v127
	;; [unrolled: 1-line block ×4, first 2 shown]
	v_add_f32_e32 v68, v80, v68
	v_add_f32_e32 v80, v218, v129
	;; [unrolled: 1-line block ×5, first 2 shown]
	v_sub_f32_e32 v68, v236, v204
	v_add_f32_e32 v68, v68, v16
	v_sub_f32_e32 v80, v89, v205
	v_add_f32_e32 v68, v80, v68
	;; [unrolled: 2-line block ×5, first 2 shown]
	v_sub_f32_e32 v78, v231, v209
	v_mul_f32_e32 v101, 0xbf7ba420, v126
	v_mul_f32_e32 v130, 0x3f6eb680, v126
	;; [unrolled: 1-line block ×3, first 2 shown]
	v_add_f32_e32 v49, v131, v49
	v_mul_f32_e32 v131, 0x3f3d2fb0, v126
	v_mul_f32_e32 v211, 0xbf1a4643, v126
	;; [unrolled: 1-line block ×3, first 2 shown]
	v_add_f32_e32 v68, v78, v68
	v_sub_f32_e32 v78, v223, v213
	v_add_f32_e32 v68, v78, v68
	v_sub_f32_e32 v78, v126, v215
	v_add_f32_e32 v89, v78, v68
	v_add_f32_e32 v68, v196, v113
	v_add_f32_e32 v68, v68, v17
	v_add_f32_e32 v78, v197, v247
	v_add_f32_e32 v68, v78, v68
	v_add_f32_e32 v78, v198, v181
	v_add_f32_e32 v68, v78, v68
	v_add_f32_e32 v78, v199, v79
	v_add_f32_e32 v68, v78, v68
	v_add_f32_e32 v78, v200, v144
	v_add_f32_e32 v68, v78, v68
	v_add_f32_e32 v78, v201, v92
	v_add_f32_e32 v68, v78, v68
	v_add_f32_e32 v78, v202, v91
	v_add_f32_e32 v68, v78, v68
	v_add_f32_e32 v78, v203, v210
	v_add_f32_e32 v92, v78, v68
	v_sub_f32_e32 v68, v112, v188
	v_add_f32_e32 v68, v68, v16
	v_sub_f32_e32 v78, v246, v189
	v_add_f32_e32 v68, v78, v68
	v_sub_f32_e32 v78, v182, v190
	v_add_f32_e32 v68, v78, v68
	v_sub_f32_e32 v77, v77, v191
	v_add_f32_e32 v68, v77, v68
	v_sub_f32_e32 v77, v143, v192
	v_add_f32_e32 v68, v77, v68
	v_sub_f32_e32 v77, v98, v193
	v_add_f32_e32 v68, v77, v68
	v_sub_f32_e32 v77, v97, v194
	v_add_f32_e32 v68, v77, v68
	v_sub_f32_e32 v77, v211, v195
	v_add_f32_e32 v91, v77, v68
	v_add_f32_e32 v68, v133, v107
	v_add_f32_e32 v68, v68, v17
	v_add_f32_e32 v77, v134, v245
	v_add_f32_e32 v68, v77, v68
	v_add_f32_e32 v77, v175, v255
	v_add_f32_e32 v68, v77, v68
	v_add_f32_e32 v76, v177, v76
	v_add_f32_e32 v68, v76, v68
	v_add_f32_e32 v76, v183, v142
	v_add_f32_e32 v68, v76, v68
	v_add_f32_e32 v76, v185, v94
	v_add_f32_e32 v68, v76, v68
	v_add_f32_e32 v76, v186, v225
	v_add_f32_e32 v68, v76, v68
	v_add_f32_e32 v76, v187, v224
	v_add_f32_e32 v94, v76, v68
	v_sub_f32_e32 v68, v105, v122
	v_add_f32_e32 v68, v68, v16
	v_sub_f32_e32 v76, v136, v123
	v_add_f32_e32 v68, v76, v68
	v_sub_f32_e32 v76, v254, v124
	v_add_f32_e32 v68, v76, v68
	v_sub_f32_e32 v75, v75, v128
	v_add_f32_e32 v68, v75, v68
	v_sub_f32_e32 v75, v141, v132
	v_add_f32_e32 v68, v75, v68
	v_sub_f32_e32 v75, v233, v135
	;; [unrolled: 32-line block ×4, first 2 shown]
	v_add_f32_e32 v53, v53, v55
	v_sub_f32_e32 v55, v228, v59
	v_add_f32_e32 v53, v55, v53
	v_sub_f32_e32 v55, v130, v63
	v_add_f32_e32 v66, v55, v53
	v_add_f32_e32 v53, v87, v100
	;; [unrolled: 1-line block ×4, first 2 shown]
	buffer_load_dword v19, off, s[20:23], 0 ; 4-byte Folded Reload
	v_add_f32_e32 v55, v99, v239
	v_add_f32_e32 v53, v55, v53
	;; [unrolled: 1-line block ×14, first 2 shown]
	v_sub_f32_e32 v53, v174, v69
	v_add_f32_e32 v53, v53, v16
	v_add_f32_e32 v16, v18, v16
	;; [unrolled: 1-line block ×16, first 2 shown]
	v_sub_f32_e32 v54, v238, v161
	v_add_f32_e32 v17, v23, v17
	v_add_f32_e32 v16, v22, v16
	v_add_f32_e32 v53, v54, v53
	v_sub_f32_e32 v54, v152, v157
	v_add_f32_e32 v17, v25, v17
	v_add_f32_e32 v16, v24, v16
	v_add_f32_e32 v53, v54, v53
	;; [unrolled: 4-line block ×5, first 2 shown]
	v_sub_f32_e32 v52, v230, v52
	v_add_f32_e32 v17, v45, v17
	v_add_f32_e32 v16, v44, v16
	v_mov_b32_e32 v151, v86
	v_add_f32_e32 v50, v52, v50
	v_sub_f32_e32 v52, v101, v57
	v_add_f32_e32 v17, v47, v17
	v_add_f32_e32 v16, v46, v16
	v_mul_u32_u24_e32 v18, 17, v60
	v_mov_b32_e32 v150, v85
	v_add_f32_e32 v50, v52, v50
	v_add_f32_e32 v17, v65, v17
	;; [unrolled: 1-line block ×3, first 2 shown]
	s_waitcnt vmcnt(0)
	v_lshl_add_u32 v18, v18, 3, v19
	ds_write2_b64 v18, v[16:17], v[50:51] offset1:1
	ds_write2_b64 v18, v[66:67], v[95:96] offset0:2 offset1:3
	ds_write2_b64 v18, v[93:94], v[91:92] offset0:4 offset1:5
	;; [unrolled: 1-line block ×7, first 2 shown]
	ds_write_b64 v18, v[85:86] offset:128
.LBB0_7:
	s_or_b64 exec, exec, s[0:1]
	v_add_co_u32_e64 v61, s[0:1], 34, v154
	s_movk_i32 s4, 0xf1
	v_mul_lo_u16_sdwa v24, v61, s4 dst_sel:DWORD dst_unused:UNUSED_PAD src0_sel:BYTE_0 src1_sel:DWORD
	v_lshrrev_b16_e32 v24, 12, v24
	v_mul_lo_u16_e32 v24, 17, v24
	v_sub_u16_e32 v63, v61, v24
	v_lshlrev_b16_e32 v24, 2, v63
	v_and_b32_e32 v24, 0xfc, v24
	v_lshlrev_b32_e32 v62, 5, v154
	v_lshlrev_b32_e32 v32, 3, v24
	v_add_co_u32_e64 v68, s[0:1], 51, v154
	s_waitcnt lgkmcnt(0)
	; wave barrier
	s_waitcnt lgkmcnt(0)
	global_load_dwordx4 v[20:23], v62, s[2:3]
	global_load_dwordx4 v[16:19], v62, s[2:3] offset:16
	global_load_dwordx4 v[28:31], v32, s[2:3]
	global_load_dwordx4 v[24:27], v32, s[2:3] offset:16
	v_mul_lo_u16_sdwa v32, v68, s4 dst_sel:DWORD dst_unused:UNUSED_PAD src0_sel:BYTE_0 src1_sel:DWORD
	v_lshrrev_b16_e32 v32, 12, v32
	v_mul_lo_u16_e32 v32, 17, v32
	v_sub_u16_e32 v64, v68, v32
	v_lshlrev_b16_e32 v32, 2, v64
	v_and_b32_e32 v32, 0xfc, v32
	s_movk_i32 s0, 0x44
	v_lshlrev_b32_e32 v40, 3, v32
	v_add_co_u32_e64 v76, s[0:1], s0, v154
	global_load_dwordx4 v[36:39], v40, s[2:3]
	global_load_dwordx4 v[32:35], v40, s[2:3] offset:16
	v_mul_lo_u16_sdwa v40, v76, s4 dst_sel:DWORD dst_unused:UNUSED_PAD src0_sel:BYTE_0 src1_sel:DWORD
	v_lshrrev_b16_e32 v40, 12, v40
	v_mul_lo_u16_e32 v40, 17, v40
	v_sub_u16_e32 v65, v76, v40
	v_lshlrev_b16_e32 v40, 2, v65
	v_and_b32_e32 v40, 0xfc, v40
	v_lshlrev_b32_e32 v48, 3, v40
	global_load_dwordx4 v[44:47], v48, s[2:3]
	global_load_dwordx4 v[40:43], v48, s[2:3] offset:16
	ds_read2_b64 v[56:59], v180 offset1:17
	ds_read2_b64 v[48:51], v180 offset0:68 offset1:85
	ds_read2_b64 v[69:72], v180 offset0:170 offset1:187
	;; [unrolled: 1-line block ×3, first 2 shown]
	v_add_u32_e32 v128, 0x800, v180
	ds_read2_b64 v[81:84], v180 offset0:102 offset1:119
	ds_read2_b64 v[52:55], v180 offset0:34 offset1:51
	;; [unrolled: 1-line block ×4, first 2 shown]
	ds_read_b64 v[66:67], v180 offset:3264
	ds_read2_b64 v[93:96], v128 offset0:84 offset1:101
	ds_read2_b64 v[97:100], v128 offset0:16 offset1:33
	;; [unrolled: 1-line block ×4, first 2 shown]
	s_waitcnt lgkmcnt(0)
	; wave barrier
	s_waitcnt lgkmcnt(0)
	v_lshlrev_b32_e32 v60, 5, v60
	v_lshlrev_b32_e32 v68, 5, v68
	;; [unrolled: 1-line block ×3, first 2 shown]
	s_add_u32 s0, s16, 0xd48
	s_addc_u32 s1, s17, 0
	s_waitcnt vmcnt(7)
	v_mul_f32_e32 v73, v51, v21
	v_mul_f32_e32 v74, v50, v21
	s_waitcnt vmcnt(6)
	v_mul_f32_e32 v122, v95, v19
	v_fma_f32 v73, v50, v20, -v73
	s_waitcnt vmcnt(5)
	v_mul_f32_e32 v50, v84, v29
	v_mul_f32_e32 v105, v69, v23
	;; [unrolled: 1-line block ×5, first 2 shown]
	v_fmac_f32_e32 v122, v96, v18
	v_fma_f32 v96, v83, v28, -v50
	v_mul_f32_e32 v50, v86, v31
	v_mul_f32_e32 v75, v70, v23
	;; [unrolled: 1-line block ×5, first 2 shown]
	v_fmac_f32_e32 v105, v70, v22
	v_fma_f32 v70, v93, v18, -v113
	v_fma_f32 v93, v97, v16, -v119
	;; [unrolled: 1-line block ×3, first 2 shown]
	s_waitcnt vmcnt(4)
	v_mul_f32_e32 v50, v100, v25
	v_mul_f32_e32 v112, v79, v17
	v_fma_f32 v79, v79, v16, -v111
	v_fma_f32 v111, v99, v24, -v50
	v_mul_f32_e32 v99, v99, v25
	v_mul_f32_e32 v50, v102, v27
	v_fmac_f32_e32 v99, v100, v24
	v_fma_f32 v100, v101, v26, -v50
	v_mul_f32_e32 v101, v101, v27
	s_waitcnt vmcnt(3)
	v_mul_f32_e32 v50, v90, v37
	v_mul_f32_e32 v115, v82, v21
	v_fmac_f32_e32 v101, v102, v26
	v_fma_f32 v102, v89, v36, -v50
	v_mul_f32_e32 v50, v88, v39
	v_fmac_f32_e32 v112, v80, v16
	v_fma_f32 v80, v81, v20, -v115
	v_fma_f32 v115, v87, v38, -v50
	s_waitcnt vmcnt(2)
	v_mul_f32_e32 v50, v108, v33
	v_fma_f32 v119, v107, v32, -v50
	v_mul_f32_e32 v107, v107, v33
	v_mul_f32_e32 v50, v104, v35
	v_fmac_f32_e32 v107, v108, v32
	v_fma_f32 v108, v103, v34, -v50
	v_mul_f32_e32 v103, v103, v35
	s_waitcnt vmcnt(1)
	v_mul_f32_e32 v50, v92, v45
	v_fmac_f32_e32 v103, v104, v34
	v_fma_f32 v104, v91, v44, -v50
	v_mul_f32_e32 v50, v78, v47
	v_fma_f32 v75, v69, v22, -v75
	v_fma_f32 v123, v77, v46, -v50
	s_waitcnt vmcnt(0)
	v_mul_f32_e32 v50, v110, v41
	v_fmac_f32_e32 v74, v51, v20
	v_fma_f32 v125, v109, v40, -v50
	v_mul_f32_e32 v109, v109, v41
	v_mul_f32_e32 v50, v67, v43
	v_add_f32_e32 v51, v75, v79
	v_fmac_f32_e32 v114, v94, v18
	v_fmac_f32_e32 v109, v110, v40
	v_fma_f32 v110, v66, v42, -v50
	v_mul_f32_e32 v126, v66, v43
	v_fma_f32 v66, -0.5, v51, v56
	v_mul_f32_e32 v116, v81, v21
	v_mul_f32_e32 v117, v72, v23
	;; [unrolled: 1-line block ×3, first 2 shown]
	v_sub_f32_e32 v51, v74, v114
	v_mov_b32_e32 v69, v66
	v_fmac_f32_e32 v116, v82, v20
	v_fma_f32 v82, v71, v22, -v117
	v_fmac_f32_e32 v118, v72, v22
	v_fmac_f32_e32 v126, v67, v42
	;; [unrolled: 1-line block ×3, first 2 shown]
	v_sub_f32_e32 v67, v105, v112
	v_sub_f32_e32 v71, v73, v75
	;; [unrolled: 1-line block ×3, first 2 shown]
	v_fmac_f32_e32 v66, 0xbf737871, v51
	v_fmac_f32_e32 v69, 0x3f167918, v67
	v_add_f32_e32 v71, v71, v72
	v_fmac_f32_e32 v66, 0xbf167918, v67
	v_fmac_f32_e32 v69, 0x3e9e377a, v71
	;; [unrolled: 1-line block ×3, first 2 shown]
	v_add_f32_e32 v71, v73, v70
	v_add_f32_e32 v50, v56, v73
	v_fma_f32 v56, -0.5, v71, v56
	v_mov_b32_e32 v71, v56
	v_add_f32_e32 v50, v50, v75
	v_fmac_f32_e32 v71, 0xbf737871, v67
	v_fmac_f32_e32 v56, 0x3f737871, v67
	v_add_f32_e32 v67, v105, v112
	v_mul_f32_e32 v124, v77, v47
	v_add_f32_e32 v50, v50, v79
	v_sub_f32_e32 v72, v75, v73
	v_sub_f32_e32 v77, v79, v70
	v_fma_f32 v67, -0.5, v67, v57
	v_add_f32_e32 v50, v50, v70
	v_fmac_f32_e32 v71, 0x3f167918, v51
	v_add_f32_e32 v72, v72, v77
	v_fmac_f32_e32 v56, 0xbf167918, v51
	v_sub_f32_e32 v73, v73, v70
	v_mov_b32_e32 v70, v67
	v_fmac_f32_e32 v71, 0x3e9e377a, v72
	v_fmac_f32_e32 v56, 0x3e9e377a, v72
	;; [unrolled: 1-line block ×3, first 2 shown]
	v_sub_f32_e32 v75, v75, v79
	v_sub_f32_e32 v72, v74, v105
	;; [unrolled: 1-line block ×3, first 2 shown]
	v_fmac_f32_e32 v67, 0x3f737871, v73
	v_fmac_f32_e32 v70, 0xbf167918, v75
	v_add_f32_e32 v72, v72, v77
	v_fmac_f32_e32 v67, 0x3f167918, v75
	v_fmac_f32_e32 v70, 0x3e9e377a, v72
	v_fmac_f32_e32 v67, 0x3e9e377a, v72
	v_add_f32_e32 v72, v74, v114
	v_add_f32_e32 v51, v57, v74
	v_fma_f32 v57, -0.5, v72, v57
	v_mov_b32_e32 v72, v57
	v_fmac_f32_e32 v72, 0x3f737871, v75
	v_sub_f32_e32 v74, v105, v74
	v_sub_f32_e32 v77, v112, v114
	v_fmac_f32_e32 v57, 0xbf737871, v75
	v_fmac_f32_e32 v72, 0xbf167918, v73
	v_add_f32_e32 v74, v74, v77
	v_fmac_f32_e32 v57, 0x3f167918, v73
	v_fmac_f32_e32 v72, 0x3e9e377a, v74
	;; [unrolled: 1-line block ×3, first 2 shown]
	v_add_f32_e32 v74, v82, v93
	v_fma_f32 v77, -0.5, v74, v58
	v_fmac_f32_e32 v120, v98, v16
	v_fma_f32 v94, v95, v18, -v121
	v_sub_f32_e32 v74, v116, v122
	v_mov_b32_e32 v79, v77
	v_fmac_f32_e32 v124, v78, v46
	v_fmac_f32_e32 v79, 0x3f737871, v74
	v_sub_f32_e32 v75, v118, v120
	v_sub_f32_e32 v78, v80, v82
	;; [unrolled: 1-line block ×3, first 2 shown]
	v_fmac_f32_e32 v77, 0xbf737871, v74
	v_fmac_f32_e32 v79, 0x3f167918, v75
	v_add_f32_e32 v78, v78, v81
	v_fmac_f32_e32 v77, 0xbf167918, v75
	v_fmac_f32_e32 v79, 0x3e9e377a, v78
	;; [unrolled: 1-line block ×3, first 2 shown]
	v_add_f32_e32 v78, v80, v94
	v_add_f32_e32 v73, v58, v80
	v_fma_f32 v58, -0.5, v78, v58
	v_mov_b32_e32 v81, v58
	v_mul_f32_e32 v95, v83, v29
	v_fmac_f32_e32 v81, 0xbf737871, v75
	v_sub_f32_e32 v78, v82, v80
	v_sub_f32_e32 v83, v93, v94
	v_fmac_f32_e32 v58, 0x3f737871, v75
	v_fmac_f32_e32 v81, 0x3f167918, v74
	v_add_f32_e32 v78, v78, v83
	v_fmac_f32_e32 v58, 0xbf167918, v74
	v_add_f32_e32 v75, v118, v120
	v_fmac_f32_e32 v81, 0x3e9e377a, v78
	v_fmac_f32_e32 v58, 0x3e9e377a, v78
	v_fma_f32 v78, -0.5, v75, v59
	v_sub_f32_e32 v75, v80, v94
	v_mov_b32_e32 v80, v78
	v_fmac_f32_e32 v95, v84, v28
	v_add_f32_e32 v73, v73, v82
	v_fmac_f32_e32 v80, 0xbf737871, v75
	v_sub_f32_e32 v83, v82, v93
	v_sub_f32_e32 v82, v116, v118
	;; [unrolled: 1-line block ×3, first 2 shown]
	v_fmac_f32_e32 v78, 0x3f737871, v75
	v_fmac_f32_e32 v80, 0xbf167918, v83
	v_add_f32_e32 v82, v82, v84
	v_fmac_f32_e32 v78, 0x3f167918, v83
	v_fmac_f32_e32 v80, 0x3e9e377a, v82
	;; [unrolled: 1-line block ×3, first 2 shown]
	v_add_f32_e32 v82, v116, v122
	v_add_f32_e32 v74, v59, v116
	v_fmac_f32_e32 v59, -0.5, v82
	v_add_f32_e32 v51, v51, v105
	v_mov_b32_e32 v82, v59
	v_mul_f32_e32 v98, v85, v31
	v_add_f32_e32 v51, v51, v112
	v_add_f32_e32 v74, v74, v118
	v_fmac_f32_e32 v82, 0x3f737871, v83
	v_sub_f32_e32 v84, v118, v116
	v_sub_f32_e32 v85, v120, v122
	v_fmac_f32_e32 v59, 0xbf737871, v83
	v_add_f32_e32 v51, v51, v114
	v_add_f32_e32 v73, v73, v93
	;; [unrolled: 1-line block ×3, first 2 shown]
	v_fmac_f32_e32 v82, 0xbf167918, v75
	v_add_f32_e32 v84, v84, v85
	v_fmac_f32_e32 v59, 0x3f167918, v75
	v_add_f32_e32 v73, v73, v94
	v_add_f32_e32 v74, v74, v122
	v_fmac_f32_e32 v82, 0x3e9e377a, v84
	v_fmac_f32_e32 v59, 0x3e9e377a, v84
	ds_write2_b64 v180, v[50:51], v[69:70] offset1:17
	ds_write2_b64 v180, v[71:72], v[56:57] offset0:34 offset1:51
	ds_write2_b64 v180, v[66:67], v[73:74] offset0:68 offset1:85
	;; [unrolled: 1-line block ×4, first 2 shown]
	buffer_load_dword v136, off, s[20:23], 0 ; 4-byte Folded Reload
	v_add_f32_e32 v75, v52, v96
	v_add_f32_e32 v75, v75, v97
	v_add_f32_e32 v75, v75, v111
	v_add_f32_e32 v83, v75, v100
	v_add_f32_e32 v75, v97, v111
	v_fma_f32 v85, -0.5, v75, v52
	v_fmac_f32_e32 v98, v86, v30
	v_mul_f32_e32 v117, v87, v39
	v_sub_f32_e32 v75, v95, v101
	v_mov_b32_e32 v87, v85
	v_fmac_f32_e32 v117, v88, v38
	v_fmac_f32_e32 v87, 0x3f737871, v75
	v_sub_f32_e32 v84, v98, v99
	v_sub_f32_e32 v86, v96, v97
	;; [unrolled: 1-line block ×3, first 2 shown]
	v_fmac_f32_e32 v85, 0xbf737871, v75
	v_fmac_f32_e32 v87, 0x3f167918, v84
	v_add_f32_e32 v86, v86, v88
	v_fmac_f32_e32 v85, 0xbf167918, v84
	v_fmac_f32_e32 v87, 0x3e9e377a, v86
	;; [unrolled: 1-line block ×3, first 2 shown]
	v_add_f32_e32 v86, v96, v100
	v_fma_f32 v52, -0.5, v86, v52
	v_mul_f32_e32 v113, v89, v37
	v_mov_b32_e32 v89, v52
	v_fmac_f32_e32 v89, 0xbf737871, v84
	v_fmac_f32_e32 v52, 0x3f737871, v84
	v_fmac_f32_e32 v89, 0x3f167918, v75
	v_fmac_f32_e32 v52, 0xbf167918, v75
	v_add_f32_e32 v75, v53, v95
	v_add_f32_e32 v75, v75, v98
	v_sub_f32_e32 v86, v97, v96
	v_sub_f32_e32 v88, v111, v100
	v_add_f32_e32 v75, v75, v99
	v_add_f32_e32 v86, v86, v88
	;; [unrolled: 1-line block ×4, first 2 shown]
	v_fmac_f32_e32 v89, 0x3e9e377a, v86
	v_fmac_f32_e32 v52, 0x3e9e377a, v86
	v_fma_f32 v86, -0.5, v75, v53
	v_mul_f32_e32 v121, v91, v45
	v_sub_f32_e32 v75, v96, v100
	v_mov_b32_e32 v88, v86
	v_fmac_f32_e32 v113, v90, v36
	v_fmac_f32_e32 v121, v92, v44
	;; [unrolled: 1-line block ×3, first 2 shown]
	v_sub_f32_e32 v91, v97, v111
	v_sub_f32_e32 v90, v95, v98
	;; [unrolled: 1-line block ×3, first 2 shown]
	v_fmac_f32_e32 v86, 0x3f737871, v75
	v_fmac_f32_e32 v88, 0xbf167918, v91
	v_add_f32_e32 v90, v90, v92
	v_fmac_f32_e32 v86, 0x3f167918, v91
	v_fmac_f32_e32 v88, 0x3e9e377a, v90
	v_fmac_f32_e32 v86, 0x3e9e377a, v90
	v_add_f32_e32 v90, v95, v101
	v_fma_f32 v53, -0.5, v90, v53
	v_mov_b32_e32 v90, v53
	v_fmac_f32_e32 v90, 0x3f737871, v91
	v_fmac_f32_e32 v53, 0xbf737871, v91
	;; [unrolled: 1-line block ×4, first 2 shown]
	v_add_f32_e32 v75, v54, v102
	v_add_f32_e32 v75, v75, v115
	;; [unrolled: 1-line block ×3, first 2 shown]
	v_sub_f32_e32 v92, v98, v95
	v_sub_f32_e32 v93, v99, v101
	v_add_f32_e32 v91, v75, v108
	v_add_f32_e32 v75, v115, v119
	;; [unrolled: 1-line block ×3, first 2 shown]
	v_fma_f32 v93, -0.5, v75, v54
	v_sub_f32_e32 v75, v113, v103
	v_mov_b32_e32 v95, v93
	v_fmac_f32_e32 v90, 0x3e9e377a, v92
	v_fmac_f32_e32 v53, 0x3e9e377a, v92
	;; [unrolled: 1-line block ×3, first 2 shown]
	v_sub_f32_e32 v92, v117, v107
	v_sub_f32_e32 v94, v102, v115
	;; [unrolled: 1-line block ×3, first 2 shown]
	v_fmac_f32_e32 v93, 0xbf737871, v75
	v_fmac_f32_e32 v95, 0x3f167918, v92
	v_add_f32_e32 v94, v94, v96
	v_fmac_f32_e32 v93, 0xbf167918, v92
	v_fmac_f32_e32 v95, 0x3e9e377a, v94
	;; [unrolled: 1-line block ×3, first 2 shown]
	v_add_f32_e32 v94, v102, v108
	v_fma_f32 v54, -0.5, v94, v54
	v_mov_b32_e32 v97, v54
	v_fmac_f32_e32 v97, 0xbf737871, v92
	v_fmac_f32_e32 v54, 0x3f737871, v92
	;; [unrolled: 1-line block ×4, first 2 shown]
	v_add_f32_e32 v75, v55, v113
	v_add_f32_e32 v75, v75, v117
	v_sub_f32_e32 v94, v115, v102
	v_sub_f32_e32 v96, v119, v108
	v_add_f32_e32 v75, v75, v107
	v_add_f32_e32 v94, v94, v96
	;; [unrolled: 1-line block ×4, first 2 shown]
	v_fmac_f32_e32 v97, 0x3e9e377a, v94
	v_fmac_f32_e32 v54, 0x3e9e377a, v94
	v_fma_f32 v94, -0.5, v75, v55
	v_sub_f32_e32 v75, v102, v108
	v_mov_b32_e32 v96, v94
	v_fmac_f32_e32 v96, 0xbf737871, v75
	v_sub_f32_e32 v99, v115, v119
	v_sub_f32_e32 v98, v113, v117
	;; [unrolled: 1-line block ×3, first 2 shown]
	v_fmac_f32_e32 v94, 0x3f737871, v75
	v_fmac_f32_e32 v96, 0xbf167918, v99
	v_add_f32_e32 v98, v98, v100
	v_fmac_f32_e32 v94, 0x3f167918, v99
	v_fmac_f32_e32 v96, 0x3e9e377a, v98
	;; [unrolled: 1-line block ×3, first 2 shown]
	v_add_f32_e32 v98, v113, v103
	v_fmac_f32_e32 v55, -0.5, v98
	v_mov_b32_e32 v98, v55
	v_fmac_f32_e32 v98, 0x3f737871, v99
	v_fmac_f32_e32 v55, 0xbf737871, v99
	;; [unrolled: 1-line block ×4, first 2 shown]
	v_add_f32_e32 v75, v48, v104
	v_add_f32_e32 v75, v75, v123
	;; [unrolled: 1-line block ×3, first 2 shown]
	v_sub_f32_e32 v100, v117, v113
	v_sub_f32_e32 v101, v107, v103
	v_add_f32_e32 v99, v75, v110
	v_add_f32_e32 v75, v123, v125
	;; [unrolled: 1-line block ×3, first 2 shown]
	v_fma_f32 v101, -0.5, v75, v48
	v_sub_f32_e32 v75, v121, v126
	v_mov_b32_e32 v103, v101
	v_fmac_f32_e32 v98, 0x3e9e377a, v100
	v_fmac_f32_e32 v55, 0x3e9e377a, v100
	;; [unrolled: 1-line block ×3, first 2 shown]
	v_sub_f32_e32 v100, v124, v109
	v_sub_f32_e32 v102, v104, v123
	;; [unrolled: 1-line block ×3, first 2 shown]
	v_fmac_f32_e32 v101, 0xbf737871, v75
	v_fmac_f32_e32 v103, 0x3f167918, v100
	v_add_f32_e32 v102, v102, v105
	v_fmac_f32_e32 v101, 0xbf167918, v100
	v_fmac_f32_e32 v103, 0x3e9e377a, v102
	;; [unrolled: 1-line block ×3, first 2 shown]
	v_add_f32_e32 v102, v104, v110
	v_fma_f32 v48, -0.5, v102, v48
	v_mov_b32_e32 v107, v48
	v_fmac_f32_e32 v107, 0xbf737871, v100
	v_fmac_f32_e32 v48, 0x3f737871, v100
	;; [unrolled: 1-line block ×4, first 2 shown]
	v_add_f32_e32 v75, v49, v121
	v_add_f32_e32 v75, v75, v124
	v_sub_f32_e32 v102, v123, v104
	v_sub_f32_e32 v105, v125, v110
	v_add_f32_e32 v75, v75, v109
	v_add_f32_e32 v102, v102, v105
	;; [unrolled: 1-line block ×4, first 2 shown]
	v_fmac_f32_e32 v107, 0x3e9e377a, v102
	v_fmac_f32_e32 v48, 0x3e9e377a, v102
	v_fma_f32 v102, -0.5, v75, v49
	v_sub_f32_e32 v75, v104, v110
	v_mov_b32_e32 v104, v102
	v_and_b32_e32 v50, 0xff, v63
	v_fmac_f32_e32 v104, 0xbf737871, v75
	v_sub_f32_e32 v105, v123, v125
	v_sub_f32_e32 v108, v121, v124
	;; [unrolled: 1-line block ×3, first 2 shown]
	v_fmac_f32_e32 v102, 0x3f737871, v75
	s_waitcnt vmcnt(0)
	v_lshl_add_u32 v153, v50, 3, v136
	v_and_b32_e32 v50, 0xff, v64
	v_fmac_f32_e32 v104, 0xbf167918, v105
	v_add_f32_e32 v108, v108, v110
	v_fmac_f32_e32 v102, 0x3f167918, v105
	v_lshl_add_u32 v152, v50, 3, v136
	v_fmac_f32_e32 v104, 0x3e9e377a, v108
	v_fmac_f32_e32 v102, 0x3e9e377a, v108
	v_add_f32_e32 v108, v121, v126
	v_add_u32_e32 v50, 0x400, v152
	v_fmac_f32_e32 v49, -0.5, v108
	ds_write2_b64 v153, v[83:84], v[87:88] offset0:170 offset1:187
	ds_write2_b64 v153, v[89:90], v[52:53] offset0:204 offset1:221
	ds_write_b64 v153, v[85:86] offset:1904
	ds_write2_b64 v50, v[91:92], v[95:96] offset0:127 offset1:144
	v_add_u32_e32 v50, 0x800, v152
	v_mov_b32_e32 v108, v49
	v_sub_f32_e32 v110, v124, v121
	v_sub_f32_e32 v109, v109, v126
	v_fmac_f32_e32 v49, 0xbf737871, v105
	ds_write2_b64 v50, v[97:98], v[54:55] offset0:33 offset1:50
	ds_write_b64 v152, v[93:94] offset:2584
	v_and_b32_e32 v50, 0xff, v65
	v_fmac_f32_e32 v108, 0x3f737871, v105
	v_add_f32_e32 v109, v110, v109
	v_fmac_f32_e32 v49, 0x3f167918, v75
	v_lshl_add_u32 v185, v50, 3, v136
	v_fmac_f32_e32 v108, 0xbf167918, v75
	v_fmac_f32_e32 v49, 0x3e9e377a, v109
	v_add_u32_e32 v50, 0x800, v185
	v_fmac_f32_e32 v108, 0x3e9e377a, v109
	ds_write2_b64 v50, v[99:100], v[103:104] offset0:84 offset1:101
	ds_write2_b64 v50, v[107:108], v[48:49] offset0:118 offset1:135
	ds_write_b64 v185, v[101:102] offset:3264
	s_waitcnt lgkmcnt(0)
	; wave barrier
	s_waitcnt lgkmcnt(0)
	global_load_dwordx4 v[56:59], v62, s[2:3] offset:544
	global_load_dwordx4 v[48:51], v62, s[2:3] offset:560
	;; [unrolled: 1-line block ×4, first 2 shown]
	v_lshlrev_b32_e32 v69, 5, v61
	global_load_dwordx4 v[72:75], v69, s[2:3] offset:544
	global_load_dwordx4 v[60:63], v69, s[2:3] offset:560
	;; [unrolled: 1-line block ×3, first 2 shown]
	s_nop 0
	global_load_dwordx4 v[68:71], v68, s[2:3] offset:560
	s_nop 0
	global_load_dwordx4 v[84:87], v76, s[2:3] offset:544
	s_nop 0
	global_load_dwordx4 v[76:79], v76, s[2:3] offset:560
	ds_read2_b64 v[102:105], v180 offset1:17
	ds_read2_b64 v[92:95], v180 offset0:68 offset1:85
	ds_read2_b64 v[96:99], v180 offset0:170 offset1:187
	;; [unrolled: 1-line block ×11, first 2 shown]
	ds_read_b64 v[100:101], v180 offset:3264
	s_waitcnt vmcnt(9) lgkmcnt(11)
	v_mul_f32_e32 v127, v95, v57
	v_fma_f32 v127, v94, v56, -v127
	v_mul_f32_e32 v94, v94, v57
	v_fmac_f32_e32 v94, v95, v56
	s_waitcnt lgkmcnt(10)
	v_mul_f32_e32 v95, v97, v59
	v_fma_f32 v95, v96, v58, -v95
	v_mul_f32_e32 v96, v96, v59
	v_fmac_f32_e32 v96, v97, v58
	s_waitcnt vmcnt(8) lgkmcnt(9)
	v_mul_f32_e32 v97, v110, v49
	v_fma_f32 v97, v109, v48, -v97
	v_mul_f32_e32 v133, v109, v49
	s_waitcnt lgkmcnt(8)
	v_mul_f32_e32 v109, v112, v51
	v_fma_f32 v134, v111, v50, -v109
	s_waitcnt vmcnt(7) lgkmcnt(7)
	v_mul_f32_e32 v109, v116, v65
	v_fma_f32 v138, v115, v64, -v109
	v_mul_f32_e32 v109, v99, v67
	v_fma_f32 v140, v98, v66, -v109
	s_waitcnt vmcnt(6)
	v_mul_f32_e32 v109, v114, v55
	v_fma_f32 v142, v113, v54, -v109
	s_waitcnt vmcnt(5)
	v_mul_f32_e32 v109, v118, v73
	v_fma_f32 v144, v117, v72, -v109
	s_waitcnt lgkmcnt(4)
	v_mul_f32_e32 v109, v124, v75
	v_fma_f32 v146, v123, v74, -v109
	s_waitcnt vmcnt(4)
	v_mul_f32_e32 v109, v122, v61
	v_fma_f32 v148, v121, v60, -v109
	s_waitcnt lgkmcnt(3)
	v_mul_f32_e32 v109, v130, v63
	v_fma_f32 v179, v129, v62, -v109
	s_waitcnt vmcnt(3) lgkmcnt(2)
	v_mul_f32_e32 v109, v176, v81
	v_fma_f32 v182, v175, v80, -v109
	v_mul_f32_e32 v109, v126, v83
	v_fma_f32 v192, v125, v82, -v109
	s_waitcnt vmcnt(2) lgkmcnt(1)
	v_mul_f32_e32 v109, v189, v69
	v_fma_f32 v194, v188, v68, -v109
	v_mul_f32_e32 v195, v188, v69
	v_mul_f32_e32 v109, v132, v71
	v_fmac_f32_e32 v195, v189, v68
	v_fma_f32 v189, v131, v70, -v109
	s_waitcnt vmcnt(1)
	v_mul_f32_e32 v109, v178, v85
	v_fma_f32 v197, v177, v84, -v109
	v_mul_f32_e32 v109, v108, v87
	v_fma_f32 v199, v107, v86, -v109
	v_mul_f32_e32 v200, v107, v87
	s_waitcnt vmcnt(0)
	v_mul_f32_e32 v107, v191, v77
	v_fma_f32 v201, v190, v76, -v107
	v_mul_f32_e32 v190, v190, v77
	s_waitcnt lgkmcnt(0)
	v_mul_f32_e32 v107, v101, v79
	v_fmac_f32_e32 v190, v191, v76
	v_fma_f32 v191, v100, v78, -v107
	v_mul_f32_e32 v202, v100, v79
	v_add_f32_e32 v100, v102, v127
	v_add_f32_e32 v100, v100, v95
	;; [unrolled: 1-line block ×3, first 2 shown]
	v_mul_f32_e32 v135, v111, v51
	v_add_f32_e32 v107, v100, v134
	v_add_f32_e32 v100, v95, v97
	v_fmac_f32_e32 v135, v112, v50
	v_fma_f32 v109, -0.5, v100, v102
	v_fmac_f32_e32 v133, v110, v48
	v_sub_f32_e32 v100, v94, v135
	v_mov_b32_e32 v111, v109
	v_fmac_f32_e32 v200, v108, v86
	v_fmac_f32_e32 v202, v101, v78
	v_fmac_f32_e32 v111, 0x3f737871, v100
	v_sub_f32_e32 v101, v96, v133
	v_sub_f32_e32 v108, v127, v95
	;; [unrolled: 1-line block ×3, first 2 shown]
	v_fmac_f32_e32 v109, 0xbf737871, v100
	v_fmac_f32_e32 v111, 0x3f167918, v101
	v_add_f32_e32 v108, v108, v110
	v_fmac_f32_e32 v109, 0xbf167918, v101
	v_fmac_f32_e32 v111, 0x3e9e377a, v108
	;; [unrolled: 1-line block ×3, first 2 shown]
	v_add_f32_e32 v108, v127, v134
	v_mul_f32_e32 v143, v113, v55
	v_fma_f32 v113, -0.5, v108, v102
	v_mul_f32_e32 v139, v115, v65
	v_mov_b32_e32 v115, v113
	v_fmac_f32_e32 v115, 0xbf737871, v101
	v_fmac_f32_e32 v113, 0x3f737871, v101
	;; [unrolled: 1-line block ×4, first 2 shown]
	v_add_f32_e32 v100, v103, v94
	v_add_f32_e32 v100, v100, v96
	v_sub_f32_e32 v102, v95, v127
	v_sub_f32_e32 v108, v97, v134
	v_add_f32_e32 v100, v100, v133
	v_add_f32_e32 v102, v102, v108
	;; [unrolled: 1-line block ×4, first 2 shown]
	v_fma_f32 v110, -0.5, v100, v103
	v_sub_f32_e32 v100, v127, v134
	v_mov_b32_e32 v112, v110
	v_fmac_f32_e32 v112, 0xbf737871, v100
	v_sub_f32_e32 v95, v95, v97
	v_sub_f32_e32 v97, v94, v96
	;; [unrolled: 1-line block ×3, first 2 shown]
	v_fmac_f32_e32 v110, 0x3f737871, v100
	v_fmac_f32_e32 v112, 0xbf167918, v95
	v_add_f32_e32 v97, v97, v101
	v_fmac_f32_e32 v110, 0x3f167918, v95
	v_fmac_f32_e32 v112, 0x3e9e377a, v97
	;; [unrolled: 1-line block ×3, first 2 shown]
	v_add_f32_e32 v97, v94, v135
	v_fmac_f32_e32 v143, v114, v54
	v_fma_f32 v114, -0.5, v97, v103
	v_fmac_f32_e32 v139, v116, v64
	v_mov_b32_e32 v116, v114
	v_fmac_f32_e32 v116, 0x3f737871, v95
	v_sub_f32_e32 v94, v96, v94
	v_sub_f32_e32 v96, v133, v135
	v_fmac_f32_e32 v114, 0xbf737871, v95
	v_mul_f32_e32 v98, v98, v67
	v_fmac_f32_e32 v116, 0xbf167918, v100
	v_add_f32_e32 v94, v94, v96
	v_fmac_f32_e32 v114, 0x3f167918, v100
	v_fmac_f32_e32 v98, v99, v66
	v_mul_f32_e32 v99, v120, v53
	v_fmac_f32_e32 v116, 0x3e9e377a, v94
	v_fmac_f32_e32 v114, 0x3e9e377a, v94
	v_add_f32_e32 v94, v104, v138
	v_fma_f32 v99, v119, v52, -v99
	v_add_f32_e32 v94, v94, v140
	v_add_f32_e32 v94, v94, v99
	v_mul_f32_e32 v145, v117, v73
	v_add_f32_e32 v117, v94, v142
	v_add_f32_e32 v94, v140, v99
	v_mul_f32_e32 v141, v119, v53
	v_fma_f32 v119, -0.5, v94, v104
	v_fmac_f32_e32 v141, v120, v52
	v_mul_f32_e32 v149, v121, v61
	v_sub_f32_e32 v94, v139, v143
	v_mov_b32_e32 v121, v119
	v_fmac_f32_e32 v121, 0x3f737871, v94
	v_sub_f32_e32 v95, v98, v141
	v_sub_f32_e32 v96, v138, v140
	;; [unrolled: 1-line block ×3, first 2 shown]
	v_fmac_f32_e32 v119, 0xbf737871, v94
	v_fmac_f32_e32 v121, 0x3f167918, v95
	v_add_f32_e32 v96, v96, v97
	v_fmac_f32_e32 v119, 0xbf167918, v95
	v_fmac_f32_e32 v121, 0x3e9e377a, v96
	;; [unrolled: 1-line block ×3, first 2 shown]
	v_add_f32_e32 v96, v138, v142
	v_fma_f32 v104, -0.5, v96, v104
	v_mul_f32_e32 v147, v123, v75
	v_mov_b32_e32 v123, v104
	v_fmac_f32_e32 v123, 0xbf737871, v95
	v_fmac_f32_e32 v104, 0x3f737871, v95
	;; [unrolled: 1-line block ×4, first 2 shown]
	v_add_f32_e32 v94, v105, v139
	v_add_f32_e32 v94, v94, v98
	;; [unrolled: 1-line block ×3, first 2 shown]
	v_fmac_f32_e32 v145, v118, v72
	v_add_f32_e32 v118, v94, v143
	v_add_f32_e32 v94, v98, v141
	v_sub_f32_e32 v96, v140, v138
	v_sub_f32_e32 v97, v99, v142
	v_fma_f32 v120, -0.5, v94, v105
	v_fmac_f32_e32 v149, v122, v60
	v_add_f32_e32 v96, v96, v97
	v_sub_f32_e32 v94, v138, v142
	v_mov_b32_e32 v122, v120
	v_fmac_f32_e32 v123, 0x3e9e377a, v96
	v_fmac_f32_e32 v104, 0x3e9e377a, v96
	;; [unrolled: 1-line block ×3, first 2 shown]
	v_sub_f32_e32 v95, v140, v99
	v_sub_f32_e32 v96, v139, v98
	;; [unrolled: 1-line block ×3, first 2 shown]
	v_fmac_f32_e32 v120, 0x3f737871, v94
	v_fmac_f32_e32 v122, 0xbf167918, v95
	v_add_f32_e32 v96, v96, v97
	v_fmac_f32_e32 v120, 0x3f167918, v95
	v_fmac_f32_e32 v122, 0x3e9e377a, v96
	;; [unrolled: 1-line block ×3, first 2 shown]
	v_add_f32_e32 v96, v139, v143
	v_fmac_f32_e32 v105, -0.5, v96
	v_fmac_f32_e32 v147, v124, v74
	v_mov_b32_e32 v124, v105
	v_fmac_f32_e32 v124, 0x3f737871, v95
	v_fmac_f32_e32 v105, 0xbf737871, v95
	;; [unrolled: 1-line block ×4, first 2 shown]
	v_add_f32_e32 v94, v88, v144
	v_add_f32_e32 v94, v94, v146
	;; [unrolled: 1-line block ×3, first 2 shown]
	v_mul_f32_e32 v181, v129, v63
	v_mul_f32_e32 v193, v125, v83
	v_add_f32_e32 v125, v94, v179
	v_add_f32_e32 v94, v146, v148
	v_fmac_f32_e32 v181, v130, v62
	v_sub_f32_e32 v96, v98, v139
	v_sub_f32_e32 v97, v141, v143
	v_fma_f32 v129, -0.5, v94, v88
	v_mul_f32_e32 v196, v131, v71
	v_add_f32_e32 v96, v96, v97
	v_sub_f32_e32 v94, v145, v181
	v_mov_b32_e32 v131, v129
	v_fmac_f32_e32 v124, 0x3e9e377a, v96
	v_fmac_f32_e32 v105, 0x3e9e377a, v96
	v_fmac_f32_e32 v131, 0x3f737871, v94
	v_sub_f32_e32 v95, v147, v149
	v_sub_f32_e32 v96, v144, v146
	;; [unrolled: 1-line block ×3, first 2 shown]
	v_fmac_f32_e32 v129, 0xbf737871, v94
	v_fmac_f32_e32 v131, 0x3f167918, v95
	v_add_f32_e32 v96, v96, v97
	v_fmac_f32_e32 v129, 0xbf167918, v95
	v_fmac_f32_e32 v131, 0x3e9e377a, v96
	;; [unrolled: 1-line block ×3, first 2 shown]
	v_add_f32_e32 v96, v144, v179
	v_fma_f32 v133, -0.5, v96, v88
	v_mul_f32_e32 v183, v175, v81
	v_mov_b32_e32 v175, v133
	v_fmac_f32_e32 v175, 0xbf737871, v95
	v_sub_f32_e32 v88, v146, v144
	v_sub_f32_e32 v96, v148, v179
	v_fmac_f32_e32 v133, 0x3f737871, v95
	v_fmac_f32_e32 v175, 0x3f167918, v94
	v_add_f32_e32 v88, v88, v96
	v_fmac_f32_e32 v133, 0xbf167918, v94
	v_fmac_f32_e32 v175, 0x3e9e377a, v88
	;; [unrolled: 1-line block ×3, first 2 shown]
	v_add_f32_e32 v88, v89, v145
	v_add_f32_e32 v88, v88, v147
	;; [unrolled: 1-line block ×3, first 2 shown]
	v_fmac_f32_e32 v193, v126, v82
	v_add_f32_e32 v126, v88, v181
	v_add_f32_e32 v88, v147, v149
	v_fma_f32 v130, -0.5, v88, v89
	v_fmac_f32_e32 v196, v132, v70
	v_sub_f32_e32 v88, v144, v179
	v_mov_b32_e32 v132, v130
	v_fmac_f32_e32 v132, 0xbf737871, v88
	v_sub_f32_e32 v94, v146, v148
	v_sub_f32_e32 v95, v145, v147
	;; [unrolled: 1-line block ×3, first 2 shown]
	v_fmac_f32_e32 v130, 0x3f737871, v88
	v_fmac_f32_e32 v132, 0xbf167918, v94
	v_add_f32_e32 v95, v95, v96
	v_fmac_f32_e32 v130, 0x3f167918, v94
	v_fmac_f32_e32 v132, 0x3e9e377a, v95
	;; [unrolled: 1-line block ×3, first 2 shown]
	v_add_f32_e32 v95, v145, v181
	v_fma_f32 v134, -0.5, v95, v89
	v_fmac_f32_e32 v183, v176, v80
	v_mov_b32_e32 v176, v134
	v_fmac_f32_e32 v176, 0x3f737871, v94
	v_fmac_f32_e32 v134, 0xbf737871, v94
	;; [unrolled: 1-line block ×4, first 2 shown]
	v_add_f32_e32 v88, v90, v182
	v_add_f32_e32 v88, v88, v192
	;; [unrolled: 1-line block ×3, first 2 shown]
	v_mul_f32_e32 v198, v177, v85
	v_sub_f32_e32 v89, v147, v145
	v_sub_f32_e32 v95, v149, v181
	v_add_f32_e32 v177, v88, v189
	v_add_f32_e32 v88, v192, v194
	;; [unrolled: 1-line block ×3, first 2 shown]
	v_fma_f32 v96, -0.5, v88, v90
	v_fmac_f32_e32 v176, 0x3e9e377a, v89
	v_fmac_f32_e32 v134, 0x3e9e377a, v89
	v_sub_f32_e32 v89, v183, v196
	v_mov_b32_e32 v188, v96
	v_fmac_f32_e32 v188, 0x3f737871, v89
	v_sub_f32_e32 v94, v193, v195
	v_sub_f32_e32 v88, v182, v192
	;; [unrolled: 1-line block ×3, first 2 shown]
	v_fmac_f32_e32 v96, 0xbf737871, v89
	v_fmac_f32_e32 v188, 0x3f167918, v94
	v_add_f32_e32 v88, v88, v95
	v_fmac_f32_e32 v96, 0xbf167918, v94
	v_fmac_f32_e32 v188, 0x3e9e377a, v88
	;; [unrolled: 1-line block ×3, first 2 shown]
	v_add_f32_e32 v88, v182, v189
	v_fma_f32 v90, -0.5, v88, v90
	v_mov_b32_e32 v88, v90
	v_fmac_f32_e32 v88, 0xbf737871, v94
	v_fmac_f32_e32 v90, 0x3f737871, v94
	;; [unrolled: 1-line block ×4, first 2 shown]
	v_add_f32_e32 v89, v91, v183
	v_add_f32_e32 v89, v89, v193
	v_add_f32_e32 v89, v89, v195
	v_fmac_f32_e32 v198, v178, v84
	v_sub_f32_e32 v95, v192, v182
	v_sub_f32_e32 v97, v194, v189
	v_add_f32_e32 v178, v89, v196
	v_add_f32_e32 v89, v193, v195
	;; [unrolled: 1-line block ×3, first 2 shown]
	v_fma_f32 v97, -0.5, v89, v91
	v_sub_f32_e32 v94, v182, v189
	v_mov_b32_e32 v189, v97
	v_fmac_f32_e32 v88, 0x3e9e377a, v95
	v_fmac_f32_e32 v90, 0x3e9e377a, v95
	;; [unrolled: 1-line block ×3, first 2 shown]
	v_sub_f32_e32 v95, v192, v194
	v_sub_f32_e32 v89, v183, v193
	v_sub_f32_e32 v98, v196, v195
	v_fmac_f32_e32 v97, 0x3f737871, v94
	v_fmac_f32_e32 v189, 0xbf167918, v95
	v_add_f32_e32 v89, v89, v98
	v_fmac_f32_e32 v97, 0x3f167918, v95
	v_fmac_f32_e32 v189, 0x3e9e377a, v89
	;; [unrolled: 1-line block ×3, first 2 shown]
	v_add_f32_e32 v89, v183, v196
	v_fmac_f32_e32 v91, -0.5, v89
	v_mov_b32_e32 v89, v91
	v_fmac_f32_e32 v89, 0x3f737871, v95
	v_fmac_f32_e32 v91, 0xbf737871, v95
	;; [unrolled: 1-line block ×4, first 2 shown]
	v_add_f32_e32 v94, v92, v197
	v_sub_f32_e32 v98, v193, v183
	v_sub_f32_e32 v99, v195, v196
	v_add_f32_e32 v94, v94, v199
	v_add_f32_e32 v98, v98, v99
	;; [unrolled: 1-line block ×3, first 2 shown]
	v_fmac_f32_e32 v89, 0x3e9e377a, v98
	v_fmac_f32_e32 v91, 0x3e9e377a, v98
	v_add_f32_e32 v98, v94, v191
	v_add_f32_e32 v94, v199, v201
	v_fma_f32 v94, -0.5, v94, v92
	v_sub_f32_e32 v95, v198, v202
	v_mov_b32_e32 v100, v94
	v_fmac_f32_e32 v115, 0x3e9e377a, v102
	v_fmac_f32_e32 v113, 0x3e9e377a, v102
	;; [unrolled: 1-line block ×3, first 2 shown]
	v_sub_f32_e32 v99, v200, v190
	v_sub_f32_e32 v101, v197, v199
	v_sub_f32_e32 v102, v191, v201
	v_fmac_f32_e32 v94, 0xbf737871, v95
	v_fmac_f32_e32 v100, 0x3f167918, v99
	v_add_f32_e32 v101, v101, v102
	v_fmac_f32_e32 v94, 0xbf167918, v99
	v_fmac_f32_e32 v100, 0x3e9e377a, v101
	;; [unrolled: 1-line block ×3, first 2 shown]
	v_add_f32_e32 v101, v197, v191
	v_fma_f32 v92, -0.5, v101, v92
	v_mov_b32_e32 v102, v92
	v_fmac_f32_e32 v102, 0xbf737871, v99
	v_fmac_f32_e32 v92, 0x3f737871, v99
	v_fmac_f32_e32 v102, 0x3f167918, v95
	v_fmac_f32_e32 v92, 0xbf167918, v95
	v_add_f32_e32 v95, v93, v198
	v_add_f32_e32 v95, v95, v200
	;; [unrolled: 1-line block ×3, first 2 shown]
	v_sub_f32_e32 v101, v199, v197
	v_sub_f32_e32 v103, v201, v191
	v_add_f32_e32 v99, v95, v202
	v_add_f32_e32 v95, v200, v190
	;; [unrolled: 1-line block ×3, first 2 shown]
	v_fma_f32 v95, -0.5, v95, v93
	v_fmac_f32_e32 v102, 0x3e9e377a, v101
	v_fmac_f32_e32 v92, 0x3e9e377a, v101
	v_sub_f32_e32 v127, v197, v191
	v_mov_b32_e32 v101, v95
	v_fmac_f32_e32 v101, 0xbf737871, v127
	v_sub_f32_e32 v135, v199, v201
	v_sub_f32_e32 v103, v198, v200
	v_sub_f32_e32 v138, v202, v190
	v_fmac_f32_e32 v95, 0x3f737871, v127
	v_fmac_f32_e32 v101, 0xbf167918, v135
	v_add_f32_e32 v103, v103, v138
	v_fmac_f32_e32 v95, 0x3f167918, v135
	v_fmac_f32_e32 v101, 0x3e9e377a, v103
	;; [unrolled: 1-line block ×3, first 2 shown]
	v_add_f32_e32 v103, v198, v202
	v_fmac_f32_e32 v93, -0.5, v103
	v_mov_b32_e32 v103, v93
	v_lshl_add_u32 v183, v154, 3, v136
	v_fmac_f32_e32 v103, 0x3f737871, v135
	v_sub_f32_e32 v138, v200, v198
	v_sub_f32_e32 v139, v190, v202
	v_fmac_f32_e32 v93, 0xbf737871, v135
	ds_write_b64 v180, v[107:108]
	v_add_u32_e32 v107, 0x400, v183
	v_fmac_f32_e32 v103, 0xbf167918, v127
	v_add_f32_e32 v138, v138, v139
	v_fmac_f32_e32 v93, 0x3f167918, v127
	ds_write2_b64 v183, v[111:112], v[121:122] offset0:85 offset1:102
	ds_write2_b64 v183, v[115:116], v[123:124] offset0:170 offset1:187
	;; [unrolled: 1-line block ×3, first 2 shown]
	v_add_u32_e32 v104, 0x800, v183
	v_fmac_f32_e32 v103, 0x3e9e377a, v138
	v_fmac_f32_e32 v93, 0x3e9e377a, v138
	ds_write2_b64 v104, v[109:110], v[119:120] offset0:84 offset1:101
	ds_write2_b64 v183, v[117:118], v[125:126] offset0:17 offset1:34
	ds_write_b64 v180, v[131:132] offset:952
	ds_write_b64 v180, v[175:176] offset:1632
	ds_write_b64 v180, v[133:134] offset:2312
	ds_write_b64 v180, v[129:130] offset:2992
	ds_write_b64 v183, v[177:178] offset:408
	ds_write_b64 v180, v[188:189] offset:1088
	ds_write_b64 v180, v[88:89] offset:1768
	ds_write_b64 v180, v[90:91] offset:2448
	ds_write_b64 v180, v[96:97] offset:3128
	ds_write_b64 v183, v[98:99] offset:544
	ds_write_b64 v180, v[100:101] offset:1224
	ds_write_b64 v180, v[102:103] offset:1904
	ds_write_b64 v180, v[92:93] offset:2584
	ds_write_b64 v180, v[94:95] offset:3264
	s_waitcnt lgkmcnt(0)
	; wave barrier
	s_waitcnt lgkmcnt(0)
	global_load_dwordx2 v[104:105], v[243:244], off offset:3400
	global_load_dwordx2 v[115:116], v106, s[0:1] offset:200
	global_load_dwordx2 v[117:118], v106, s[0:1] offset:400
	;; [unrolled: 1-line block ×16, first 2 shown]
	ds_read2_b64 v[107:110], v180 offset1:25
	s_waitcnt vmcnt(16) lgkmcnt(0)
	v_mul_f32_e32 v111, v108, v105
	v_fma_f32 v196, v107, v104, -v111
	ds_read2_b64 v[111:114], v180 offset0:50 offset1:75
	v_mul_f32_e32 v197, v107, v105
	v_fmac_f32_e32 v197, v108, v104
	s_waitcnt vmcnt(15)
	v_mul_f32_e32 v104, v110, v116
	v_mul_f32_e32 v105, v109, v116
	v_fma_f32 v104, v109, v115, -v104
	v_fmac_f32_e32 v105, v110, v115
	ds_read2_b64 v[107:110], v180 offset0:100 offset1:125
	ds_write2_b64 v180, v[196:197], v[104:105] offset1:25
	s_waitcnt vmcnt(14) lgkmcnt(2)
	v_mul_f32_e32 v104, v112, v118
	v_mul_f32_e32 v105, v111, v118
	v_fma_f32 v104, v111, v117, -v104
	v_fmac_f32_e32 v105, v112, v117
	s_waitcnt vmcnt(13)
	v_mul_f32_e32 v111, v114, v120
	v_mul_f32_e32 v112, v113, v120
	v_fma_f32 v111, v113, v119, -v111
	v_fmac_f32_e32 v112, v114, v119
	ds_write2_b64 v180, v[104:105], v[111:112] offset0:50 offset1:75
	ds_read2_b64 v[111:114], v180 offset0:150 offset1:175
	s_waitcnt vmcnt(12) lgkmcnt(3)
	v_mul_f32_e32 v104, v108, v122
	v_mul_f32_e32 v105, v107, v122
	v_fma_f32 v104, v107, v121, -v104
	v_fmac_f32_e32 v105, v108, v121
	s_waitcnt vmcnt(11)
	v_mul_f32_e32 v107, v110, v124
	v_mul_f32_e32 v108, v109, v124
	v_fma_f32 v107, v109, v123, -v107
	v_fmac_f32_e32 v108, v110, v123
	ds_write2_b64 v180, v[104:105], v[107:108] offset0:100 offset1:125
	ds_read2_b64 v[107:110], v180 offset0:200 offset1:225
	s_waitcnt vmcnt(10) lgkmcnt(2)
	v_mul_f32_e32 v104, v112, v126
	v_mul_f32_e32 v105, v111, v126
	v_fma_f32 v104, v111, v125, -v104
	v_fmac_f32_e32 v105, v112, v125
	s_waitcnt vmcnt(9)
	v_mul_f32_e32 v111, v114, v130
	v_mul_f32_e32 v112, v113, v130
	v_fma_f32 v111, v113, v129, -v111
	v_fmac_f32_e32 v112, v114, v129
	ds_write2_b64 v180, v[104:105], v[111:112] offset0:150 offset1:175
	v_add_u32_e32 v112, 0x400, v180
	s_waitcnt vmcnt(8) lgkmcnt(1)
	v_mul_f32_e32 v104, v108, v132
	v_mul_f32_e32 v105, v107, v132
	ds_read2_b64 v[113:116], v112 offset0:122 offset1:147
	v_fma_f32 v104, v107, v131, -v104
	v_fmac_f32_e32 v105, v108, v131
	s_waitcnt vmcnt(7)
	v_mul_f32_e32 v107, v110, v134
	v_mul_f32_e32 v108, v109, v134
	v_fma_f32 v107, v109, v133, -v107
	v_fmac_f32_e32 v108, v110, v133
	ds_write2_b64 v180, v[104:105], v[107:108] offset0:200 offset1:225
	ds_read2_b64 v[107:110], v128 offset0:44 offset1:69
	s_waitcnt vmcnt(6) lgkmcnt(2)
	v_mul_f32_e32 v105, v113, v176
	v_mul_f32_e32 v104, v114, v176
	v_fmac_f32_e32 v105, v114, v175
	s_waitcnt vmcnt(5)
	v_mul_f32_e32 v111, v116, v178
	v_mul_f32_e32 v114, v115, v178
	v_fma_f32 v104, v113, v175, -v104
	v_fma_f32 v113, v115, v177, -v111
	v_fmac_f32_e32 v114, v116, v177
	ds_write2_b64 v112, v[104:105], v[113:114] offset0:122 offset1:147
	s_waitcnt vmcnt(4) lgkmcnt(1)
	v_mul_f32_e32 v104, v108, v189
	v_mul_f32_e32 v105, v107, v189
	v_fma_f32 v104, v107, v188, -v104
	v_fmac_f32_e32 v105, v108, v188
	s_waitcnt vmcnt(3)
	v_mul_f32_e32 v107, v110, v191
	ds_read2_b64 v[113:116], v128 offset0:94 offset1:119
	v_mul_f32_e32 v108, v109, v191
	v_fma_f32 v107, v109, v190, -v107
	v_fmac_f32_e32 v108, v110, v190
	ds_write2_b64 v128, v[104:105], v[107:108] offset0:44 offset1:69
	ds_read_b64 v[107:108], v180 offset:3200
	s_waitcnt vmcnt(2) lgkmcnt(2)
	v_mul_f32_e32 v104, v114, v193
	v_mul_f32_e32 v105, v113, v193
	s_waitcnt vmcnt(1)
	v_mul_f32_e32 v109, v116, v195
	v_mul_f32_e32 v110, v115, v195
	v_fma_f32 v104, v113, v192, -v104
	v_fmac_f32_e32 v105, v114, v192
	v_fma_f32 v109, v115, v194, -v109
	v_fmac_f32_e32 v110, v116, v194
	ds_write2_b64 v128, v[104:105], v[109:110] offset0:94 offset1:119
	s_waitcnt vmcnt(0) lgkmcnt(1)
	v_mul_f32_e32 v104, v108, v199
	v_mul_f32_e32 v105, v107, v199
	v_fma_f32 v104, v107, v198, -v104
	v_fmac_f32_e32 v105, v108, v198
	ds_write_b64 v180, v[104:105] offset:3200
	s_and_saveexec_b64 s[2:3], vcc
	s_cbranch_execz .LBB0_9
; %bb.8:
	v_mov_b32_e32 v105, s1
	v_add_co_u32_e64 v104, s[0:1], s0, v106
	v_addc_co_u32_e64 v105, s[0:1], 0, v105, s[0:1]
	global_load_dwordx2 v[106:107], v[104:105], off offset:136
	global_load_dwordx2 v[125:126], v[104:105], off offset:336
	;; [unrolled: 1-line block ×15, first 2 shown]
	ds_read_b64 v[108:109], v183 offset:136
	global_load_dwordx2 v[212:213], v[104:105], off offset:3136
	global_load_dwordx2 v[214:215], v[104:105], off offset:3336
	s_waitcnt vmcnt(16) lgkmcnt(0)
	v_mul_f32_e32 v104, v109, v107
	v_mul_f32_e32 v105, v108, v107
	v_fma_f32 v104, v108, v106, -v104
	v_fmac_f32_e32 v105, v109, v106
	ds_write_b64 v183, v[104:105] offset:136
	ds_read2_b64 v[104:107], v180 offset0:42 offset1:67
	ds_read2_b64 v[108:111], v180 offset0:92 offset1:117
	;; [unrolled: 1-line block ×7, first 2 shown]
	s_waitcnt vmcnt(15) lgkmcnt(6)
	v_mul_f32_e32 v138, v105, v126
	v_mul_f32_e32 v127, v104, v126
	s_waitcnt vmcnt(14)
	v_mul_f32_e32 v139, v107, v134
	v_mul_f32_e32 v135, v106, v134
	s_waitcnt vmcnt(13) lgkmcnt(5)
	v_mul_f32_e32 v140, v109, v189
	v_mul_f32_e32 v217, v108, v189
	s_waitcnt vmcnt(12)
	v_mul_f32_e32 v141, v111, v191
	v_mul_f32_e32 v189, v110, v191
	;; [unrolled: 6-line block ×6, first 2 shown]
	v_fma_f32 v126, v104, v125, -v138
	v_fmac_f32_e32 v127, v105, v125
	v_fma_f32 v134, v106, v133, -v139
	v_fmac_f32_e32 v135, v107, v133
	;; [unrolled: 2-line block ×12, first 2 shown]
	ds_write2_b64 v180, v[126:127], v[134:135] offset0:42 offset1:67
	ds_write2_b64 v180, v[216:217], v[188:189] offset0:92 offset1:117
	;; [unrolled: 1-line block ×6, first 2 shown]
	ds_read2_b64 v[104:107], v128 offset0:136 offset1:161
	s_waitcnt vmcnt(3) lgkmcnt(7)
	v_mul_f32_e32 v179, v176, v209
	v_mul_f32_e32 v207, v175, v209
	s_waitcnt vmcnt(2)
	v_mul_f32_e32 v108, v178, v211
	v_mul_f32_e32 v109, v177, v211
	v_fma_f32 v206, v175, v208, -v179
	v_fmac_f32_e32 v207, v176, v208
	v_fma_f32 v108, v177, v210, -v108
	v_fmac_f32_e32 v109, v178, v210
	ds_write2_b64 v128, v[206:207], v[108:109] offset0:86 offset1:111
	s_waitcnt vmcnt(1) lgkmcnt(1)
	v_mul_f32_e32 v108, v105, v213
	v_mul_f32_e32 v109, v104, v213
	v_fma_f32 v108, v104, v212, -v108
	v_fmac_f32_e32 v109, v105, v212
	s_waitcnt vmcnt(0)
	v_mul_f32_e32 v104, v107, v215
	v_mul_f32_e32 v105, v106, v215
	v_fma_f32 v104, v106, v214, -v104
	v_fmac_f32_e32 v105, v107, v214
	ds_write2_b64 v128, v[108:109], v[104:105] offset0:136 offset1:161
.LBB0_9:
	s_or_b64 exec, exec, s[2:3]
	s_waitcnt lgkmcnt(0)
	; wave barrier
	s_waitcnt lgkmcnt(0)
	ds_read2_b64 v[132:135], v180 offset1:25
	ds_read2_b64 v[124:127], v180 offset0:50 offset1:75
	ds_read2_b64 v[116:119], v180 offset0:100 offset1:125
	;; [unrolled: 1-line block ×7, first 2 shown]
	ds_read_b64 v[177:178], v180 offset:3200
	s_and_saveexec_b64 s[0:1], vcc
	s_cbranch_execz .LBB0_11
; %bb.10:
	ds_read2_b64 v[88:91], v183 offset0:17 offset1:42
	ds_read2_b64 v[96:99], v183 offset0:67 offset1:92
	;; [unrolled: 1-line block ×5, first 2 shown]
	v_add_u32_e32 v0, 0x800, v183
	ds_read2_b64 v[8:11], v0 offset0:11 offset1:36
	ds_read2_b64 v[4:7], v0 offset0:61 offset1:86
	;; [unrolled: 1-line block ×3, first 2 shown]
	ds_read_b64 v[150:151], v183 offset:3336
.LBB0_11:
	s_or_b64 exec, exec, s[0:1]
	s_waitcnt lgkmcnt(8)
	v_add_f32_e32 v139, v133, v135
	s_waitcnt lgkmcnt(7)
	v_add_f32_e32 v139, v139, v125
	v_add_f32_e32 v138, v132, v134
	v_add_f32_e32 v139, v139, v127
	v_add_f32_e32 v138, v138, v124
	s_waitcnt lgkmcnt(6)
	v_add_f32_e32 v139, v139, v117
	v_add_f32_e32 v138, v138, v126
	v_add_f32_e32 v139, v139, v119
	;; [unrolled: 5-line block ×7, first 2 shown]
	v_add_f32_e32 v138, v138, v128
	s_waitcnt lgkmcnt(0)
	v_add_f32_e32 v176, v139, v178
	v_add_f32_e32 v139, v178, v135
	v_sub_f32_e32 v135, v135, v178
	v_add_f32_e32 v138, v138, v130
	v_mul_f32_e32 v140, 0xbeb8f4ab, v135
	v_mul_f32_e32 v144, 0xbf2c7751, v135
	;; [unrolled: 1-line block ×8, first 2 shown]
	v_add_f32_e32 v175, v138, v177
	v_add_f32_e32 v138, v177, v134
	s_mov_b32 s2, 0x3f6eb680
	v_mov_b32_e32 v141, v140
	s_mov_b32 s3, 0x3f3d2fb0
	v_mov_b32_e32 v145, v144
	;; [unrolled: 2-line block ×3, first 2 shown]
	v_mov_b32_e32 v181, v179
	v_mov_b32_e32 v193, v192
	;; [unrolled: 1-line block ×5, first 2 shown]
	v_sub_f32_e32 v134, v134, v177
	v_fmac_f32_e32 v141, 0x3f6eb680, v138
	v_mul_f32_e32 v142, 0x3f6eb680, v139
	v_fma_f32 v140, v138, s2, -v140
	v_fmac_f32_e32 v145, 0x3f3d2fb0, v138
	v_mul_f32_e32 v146, 0x3f3d2fb0, v139
	v_fma_f32 v144, v138, s3, -v144
	;; [unrolled: 3-line block ×8, first 2 shown]
	v_add_f32_e32 v141, v132, v141
	v_mov_b32_e32 v143, v142
	v_add_f32_e32 v140, v132, v140
	v_add_f32_e32 v145, v132, v145
	v_mov_b32_e32 v147, v146
	v_add_f32_e32 v144, v132, v144
	;; [unrolled: 3-line block ×8, first 2 shown]
	v_add_f32_e32 v135, v131, v125
	v_sub_f32_e32 v125, v125, v131
	v_fmac_f32_e32 v143, 0x3eb8f4ab, v134
	v_fmac_f32_e32 v142, 0xbeb8f4ab, v134
	v_fmac_f32_e32 v147, 0x3f2c7751, v134
	v_fmac_f32_e32 v146, 0xbf2c7751, v134
	v_fmac_f32_e32 v178, 0x3f65296c, v134
	v_fmac_f32_e32 v177, 0xbf65296c, v134
	v_fmac_f32_e32 v191, 0x3f7ee86f, v134
	v_fmac_f32_e32 v182, 0xbf7ee86f, v134
	v_fmac_f32_e32 v195, 0x3f763a35, v134
	v_fmac_f32_e32 v194, 0xbf763a35, v134
	v_fmac_f32_e32 v199, 0x3f4c4adb, v134
	v_fmac_f32_e32 v198, 0xbf4c4adb, v134
	v_fmac_f32_e32 v203, 0x3f06c442, v134
	v_fmac_f32_e32 v202, 0xbf06c442, v134
	v_fmac_f32_e32 v205, 0x3e3c28d5, v134
	v_fmac_f32_e32 v139, 0xbe3c28d5, v134
	v_add_f32_e32 v134, v130, v124
	v_sub_f32_e32 v124, v124, v130
	v_mul_f32_e32 v130, 0xbf2c7751, v125
	v_mov_b32_e32 v131, v130
	v_fma_f32 v130, v134, s3, -v130
	v_fmac_f32_e32 v131, 0x3f3d2fb0, v134
	v_mul_f32_e32 v138, 0x3f3d2fb0, v135
	v_add_f32_e32 v130, v130, v140
	v_mul_f32_e32 v140, 0xbf7ee86f, v125
	v_add_f32_e32 v143, v133, v143
	v_add_f32_e32 v142, v133, v142
	;; [unrolled: 1-line block ×17, first 2 shown]
	v_mov_b32_e32 v139, v138
	v_fmac_f32_e32 v138, 0xbf2c7751, v124
	v_mov_b32_e32 v141, v140
	v_fma_f32 v140, v134, s5, -v140
	v_fmac_f32_e32 v139, 0x3f2c7751, v124
	v_add_f32_e32 v138, v138, v142
	v_fmac_f32_e32 v141, 0x3dbcf732, v134
	v_mul_f32_e32 v142, 0x3dbcf732, v135
	v_add_f32_e32 v140, v140, v144
	v_mul_f32_e32 v144, 0xbf4c4adb, v125
	v_add_f32_e32 v139, v139, v143
	v_add_f32_e32 v141, v141, v145
	v_mov_b32_e32 v143, v142
	v_fmac_f32_e32 v142, 0xbf7ee86f, v124
	v_mov_b32_e32 v145, v144
	v_fma_f32 v144, v134, s13, -v144
	v_fmac_f32_e32 v143, 0x3f7ee86f, v124
	v_add_f32_e32 v142, v142, v146
	v_fmac_f32_e32 v145, 0xbf1a4643, v134
	v_mul_f32_e32 v146, 0xbf1a4643, v135
	v_add_f32_e32 v144, v144, v148
	v_mul_f32_e32 v148, 0xbe3c28d5, v125
	v_add_f32_e32 v143, v143, v147
	v_add_f32_e32 v145, v145, v149
	;; [unrolled: 12-line block ×5, first 2 shown]
	v_mov_b32_e32 v195, v194
	v_fmac_f32_e32 v194, 0x3f763a35, v124
	v_mov_b32_e32 v197, v196
	v_fmac_f32_e32 v195, 0xbf763a35, v124
	v_add_f32_e32 v194, v194, v198
	v_fmac_f32_e32 v197, 0x3ee437d1, v134
	v_mul_f32_e32 v198, 0x3ee437d1, v135
	v_mul_f32_e32 v135, 0x3f6eb680, v135
	v_add_f32_e32 v195, v195, v199
	v_add_f32_e32 v197, v197, v201
	v_mov_b32_e32 v199, v198
	v_fma_f32 v196, v134, s4, -v196
	v_mul_f32_e32 v125, 0x3eb8f4ab, v125
	v_mov_b32_e32 v201, v135
	v_fmac_f32_e32 v135, 0x3eb8f4ab, v124
	v_fmac_f32_e32 v199, 0xbf65296c, v124
	v_add_f32_e32 v196, v196, v200
	v_fmac_f32_e32 v198, 0x3f65296c, v124
	v_mov_b32_e32 v200, v125
	v_fmac_f32_e32 v201, 0xbeb8f4ab, v124
	v_fma_f32 v125, v134, s2, -v125
	v_add_f32_e32 v124, v135, v133
	v_add_f32_e32 v133, v129, v127
	v_sub_f32_e32 v127, v127, v129
	v_add_f32_e32 v125, v125, v132
	v_add_f32_e32 v132, v128, v126
	v_sub_f32_e32 v126, v126, v128
	v_mul_f32_e32 v128, 0xbf65296c, v127
	v_mov_b32_e32 v129, v128
	v_fmac_f32_e32 v129, 0x3ee437d1, v132
	v_add_f32_e32 v129, v129, v131
	v_mul_f32_e32 v131, 0x3ee437d1, v133
	v_fmac_f32_e32 v200, 0x3f6eb680, v134
	v_mov_b32_e32 v134, v131
	v_fma_f32 v128, v132, s4, -v128
	v_fmac_f32_e32 v131, 0xbf65296c, v126
	v_add_f32_e32 v128, v128, v130
	v_add_f32_e32 v130, v131, v138
	v_mul_f32_e32 v131, 0xbf4c4adb, v127
	v_mov_b32_e32 v135, v131
	v_fma_f32 v131, v132, s13, -v131
	v_fmac_f32_e32 v134, 0x3f65296c, v126
	v_fmac_f32_e32 v135, 0xbf1a4643, v132
	v_mul_f32_e32 v138, 0xbf1a4643, v133
	v_add_f32_e32 v131, v131, v140
	v_mul_f32_e32 v140, 0x3e3c28d5, v127
	v_add_f32_e32 v134, v134, v139
	v_add_f32_e32 v135, v135, v141
	v_mov_b32_e32 v139, v138
	v_fmac_f32_e32 v138, 0xbf4c4adb, v126
	v_mov_b32_e32 v141, v140
	v_fma_f32 v140, v132, s15, -v140
	v_fmac_f32_e32 v139, 0x3f4c4adb, v126
	v_add_f32_e32 v138, v138, v142
	v_fmac_f32_e32 v141, 0xbf7ba420, v132
	v_mul_f32_e32 v142, 0xbf7ba420, v133
	v_add_f32_e32 v140, v140, v144
	v_mul_f32_e32 v144, 0x3f763a35, v127
	v_add_f32_e32 v139, v139, v143
	v_add_f32_e32 v141, v141, v145
	v_mov_b32_e32 v143, v142
	v_fmac_f32_e32 v142, 0x3e3c28d5, v126
	v_mov_b32_e32 v145, v144
	v_fma_f32 v144, v132, s12, -v144
	v_fmac_f32_e32 v143, 0xbe3c28d5, v126
	v_add_f32_e32 v142, v142, v146
	;; [unrolled: 12-line block ×4, first 2 shown]
	v_fmac_f32_e32 v181, 0x3f6eb680, v132
	v_mul_f32_e32 v182, 0x3f6eb680, v133
	v_add_f32_e32 v179, v179, v192
	v_mul_f32_e32 v192, 0xbf7ee86f, v127
	v_add_f32_e32 v178, v178, v191
	v_add_f32_e32 v181, v181, v193
	v_mov_b32_e32 v191, v182
	v_fmac_f32_e32 v182, 0xbeb8f4ab, v126
	v_mov_b32_e32 v193, v192
	v_fma_f32 v192, v132, s5, -v192
	v_mul_f32_e32 v127, 0xbf06c442, v127
	v_fmac_f32_e32 v191, 0x3eb8f4ab, v126
	v_add_f32_e32 v182, v182, v194
	v_fmac_f32_e32 v193, 0x3dbcf732, v132
	v_mul_f32_e32 v194, 0x3dbcf732, v133
	v_add_f32_e32 v192, v192, v196
	v_mov_b32_e32 v196, v127
	v_mul_f32_e32 v133, 0xbf59a7d5, v133
	v_fma_f32 v127, v132, s14, -v127
	v_add_f32_e32 v191, v191, v195
	v_add_f32_e32 v193, v193, v197
	v_mov_b32_e32 v195, v194
	v_mov_b32_e32 v197, v133
	v_add_f32_e32 v125, v127, v125
	v_add_f32_e32 v127, v123, v117
	v_sub_f32_e32 v117, v117, v123
	v_fmac_f32_e32 v195, 0x3f7ee86f, v126
	v_fmac_f32_e32 v194, 0xbf7ee86f, v126
	;; [unrolled: 1-line block ×4, first 2 shown]
	v_add_f32_e32 v126, v122, v116
	v_sub_f32_e32 v116, v116, v122
	v_mul_f32_e32 v122, 0xbf7ee86f, v117
	v_mov_b32_e32 v123, v122
	v_fmac_f32_e32 v123, 0x3dbcf732, v126
	v_add_f32_e32 v123, v123, v129
	v_mul_f32_e32 v129, 0x3dbcf732, v127
	v_fmac_f32_e32 v196, 0xbf59a7d5, v132
	v_mov_b32_e32 v132, v129
	v_fma_f32 v122, v126, s5, -v122
	v_fmac_f32_e32 v129, 0xbf7ee86f, v116
	v_add_f32_e32 v124, v133, v124
	v_fmac_f32_e32 v132, 0x3f7ee86f, v116
	v_add_f32_e32 v122, v122, v128
	v_add_f32_e32 v128, v129, v130
	v_mul_f32_e32 v129, 0xbe3c28d5, v117
	v_mul_f32_e32 v133, 0xbf7ba420, v127
	v_add_f32_e32 v132, v132, v134
	v_mov_b32_e32 v130, v129
	v_mov_b32_e32 v134, v133
	v_fma_f32 v129, v126, s15, -v129
	v_fmac_f32_e32 v133, 0xbe3c28d5, v116
	v_fmac_f32_e32 v130, 0xbf7ba420, v126
	v_add_f32_e32 v129, v129, v131
	v_add_f32_e32 v131, v133, v138
	v_mul_f32_e32 v133, 0x3f763a35, v117
	v_add_f32_e32 v130, v130, v135
	v_mov_b32_e32 v135, v133
	v_fma_f32 v133, v126, s12, -v133
	v_fmac_f32_e32 v134, 0x3e3c28d5, v116
	v_fmac_f32_e32 v135, 0xbe8c1d8e, v126
	v_mul_f32_e32 v138, 0xbe8c1d8e, v127
	v_add_f32_e32 v133, v133, v140
	v_mul_f32_e32 v140, 0x3eb8f4ab, v117
	v_add_f32_e32 v134, v134, v139
	v_add_f32_e32 v135, v135, v141
	v_mov_b32_e32 v139, v138
	v_fmac_f32_e32 v138, 0x3f763a35, v116
	v_mov_b32_e32 v141, v140
	v_fma_f32 v140, v126, s2, -v140
	v_fmac_f32_e32 v139, 0xbf763a35, v116
	v_add_f32_e32 v138, v138, v142
	v_fmac_f32_e32 v141, 0x3f6eb680, v126
	v_mul_f32_e32 v142, 0x3f6eb680, v127
	v_add_f32_e32 v140, v140, v144
	v_mul_f32_e32 v144, 0xbf65296c, v117
	v_add_f32_e32 v139, v139, v143
	v_add_f32_e32 v141, v141, v145
	v_mov_b32_e32 v143, v142
	v_fmac_f32_e32 v142, 0x3eb8f4ab, v116
	v_mov_b32_e32 v145, v144
	v_fma_f32 v144, v126, s4, -v144
	v_fmac_f32_e32 v143, 0xbeb8f4ab, v116
	v_add_f32_e32 v142, v142, v146
	;; [unrolled: 12-line block ×3, first 2 shown]
	v_fmac_f32_e32 v149, 0xbf59a7d5, v126
	v_mul_f32_e32 v177, 0xbf59a7d5, v127
	v_add_f32_e32 v148, v148, v179
	v_mul_f32_e32 v179, 0x3f4c4adb, v117
	v_add_f32_e32 v147, v147, v178
	v_add_f32_e32 v149, v149, v181
	v_mov_b32_e32 v178, v177
	v_fmac_f32_e32 v177, 0xbf06c442, v116
	v_mov_b32_e32 v181, v179
	v_fma_f32 v179, v126, s13, -v179
	v_mul_f32_e32 v117, 0x3f2c7751, v117
	v_fmac_f32_e32 v178, 0x3f06c442, v116
	v_add_f32_e32 v177, v177, v182
	v_fmac_f32_e32 v181, 0xbf1a4643, v126
	v_mul_f32_e32 v182, 0xbf1a4643, v127
	v_add_f32_e32 v179, v179, v192
	v_mov_b32_e32 v192, v117
	v_mul_f32_e32 v127, 0x3f3d2fb0, v127
	v_fma_f32 v117, v126, s3, -v117
	v_add_f32_e32 v178, v178, v191
	v_add_f32_e32 v181, v181, v193
	v_mov_b32_e32 v191, v182
	v_mov_b32_e32 v193, v127
	v_add_f32_e32 v117, v117, v125
	v_fmac_f32_e32 v127, 0x3f2c7751, v116
	v_add_f32_e32 v125, v121, v119
	v_sub_f32_e32 v119, v119, v121
	v_fmac_f32_e32 v191, 0xbf4c4adb, v116
	v_fmac_f32_e32 v182, 0x3f4c4adb, v116
	;; [unrolled: 1-line block ×3, first 2 shown]
	v_add_f32_e32 v116, v127, v124
	v_add_f32_e32 v124, v120, v118
	v_sub_f32_e32 v118, v118, v120
	v_mul_f32_e32 v120, 0xbf763a35, v119
	v_mov_b32_e32 v121, v120
	v_fmac_f32_e32 v121, 0xbe8c1d8e, v124
	v_add_f32_e32 v121, v121, v123
	v_mul_f32_e32 v123, 0xbe8c1d8e, v125
	v_fmac_f32_e32 v192, 0x3f3d2fb0, v126
	v_mov_b32_e32 v126, v123
	v_fma_f32 v120, v124, s12, -v120
	v_fmac_f32_e32 v123, 0xbf763a35, v118
	v_add_f32_e32 v120, v120, v122
	v_add_f32_e32 v122, v123, v128
	v_mul_f32_e32 v123, 0x3f06c442, v119
	v_mov_b32_e32 v127, v123
	v_fmac_f32_e32 v127, 0xbf59a7d5, v124
	v_mul_f32_e32 v128, 0xbf59a7d5, v125
	v_fma_f32 v123, v124, s14, -v123
	v_add_f32_e32 v127, v127, v130
	v_mov_b32_e32 v130, v128
	v_add_f32_e32 v123, v123, v129
	v_fmac_f32_e32 v128, 0x3f06c442, v118
	v_mul_f32_e32 v129, 0x3f2c7751, v119
	v_fmac_f32_e32 v126, 0x3f763a35, v118
	v_add_f32_e32 v128, v128, v131
	v_mov_b32_e32 v131, v129
	v_fma_f32 v129, v124, s3, -v129
	v_add_f32_e32 v126, v126, v132
	v_fmac_f32_e32 v130, 0xbf06c442, v118
	v_fmac_f32_e32 v131, 0x3f3d2fb0, v124
	v_mul_f32_e32 v132, 0x3f3d2fb0, v125
	v_add_f32_e32 v129, v129, v133
	v_mul_f32_e32 v133, 0xbf65296c, v119
	v_add_f32_e32 v130, v130, v134
	v_add_f32_e32 v131, v131, v135
	v_mov_b32_e32 v134, v132
	v_fmac_f32_e32 v132, 0x3f2c7751, v118
	v_mov_b32_e32 v135, v133
	v_fma_f32 v133, v124, s4, -v133
	v_fmac_f32_e32 v134, 0xbf2c7751, v118
	v_add_f32_e32 v132, v132, v138
	v_fmac_f32_e32 v135, 0x3ee437d1, v124
	v_mul_f32_e32 v138, 0x3ee437d1, v125
	v_add_f32_e32 v133, v133, v140
	v_mul_f32_e32 v140, 0xbe3c28d5, v119
	v_add_f32_e32 v134, v134, v139
	v_add_f32_e32 v135, v135, v141
	v_mov_b32_e32 v139, v138
	v_fmac_f32_e32 v138, 0xbf65296c, v118
	v_mov_b32_e32 v141, v140
	v_fma_f32 v140, v124, s15, -v140
	v_fmac_f32_e32 v139, 0x3f65296c, v118
	v_add_f32_e32 v138, v138, v142
	;; [unrolled: 12-line block ×3, first 2 shown]
	v_fmac_f32_e32 v145, 0x3dbcf732, v124
	v_mul_f32_e32 v146, 0x3dbcf732, v125
	v_add_f32_e32 v144, v144, v148
	v_mul_f32_e32 v148, 0xbeb8f4ab, v119
	v_add_f32_e32 v143, v143, v147
	v_add_f32_e32 v145, v145, v149
	v_mov_b32_e32 v147, v146
	v_fmac_f32_e32 v146, 0x3f7ee86f, v118
	v_mov_b32_e32 v149, v148
	v_fma_f32 v148, v124, s2, -v148
	v_mul_f32_e32 v119, 0xbf4c4adb, v119
	v_fmac_f32_e32 v147, 0xbf7ee86f, v118
	v_add_f32_e32 v146, v146, v177
	v_fmac_f32_e32 v149, 0x3f6eb680, v124
	v_mul_f32_e32 v177, 0x3f6eb680, v125
	v_add_f32_e32 v148, v148, v179
	v_mov_b32_e32 v179, v119
	v_mul_f32_e32 v125, 0xbf1a4643, v125
	v_fma_f32 v119, v124, s13, -v119
	v_add_f32_e32 v147, v147, v178
	v_add_f32_e32 v149, v149, v181
	v_mov_b32_e32 v178, v177
	v_mov_b32_e32 v181, v125
	v_add_f32_e32 v117, v119, v117
	v_add_f32_e32 v119, v115, v109
	v_sub_f32_e32 v109, v109, v115
	v_fmac_f32_e32 v178, 0x3eb8f4ab, v118
	v_fmac_f32_e32 v177, 0xbeb8f4ab, v118
	;; [unrolled: 1-line block ×4, first 2 shown]
	v_add_f32_e32 v118, v114, v108
	v_sub_f32_e32 v108, v108, v114
	v_mul_f32_e32 v114, 0xbf4c4adb, v109
	v_mov_b32_e32 v115, v114
	v_fmac_f32_e32 v115, 0xbf1a4643, v118
	v_add_f32_e32 v115, v115, v121
	v_mul_f32_e32 v121, 0xbf1a4643, v119
	v_fmac_f32_e32 v179, 0xbf1a4643, v124
	v_mov_b32_e32 v124, v121
	v_fma_f32 v114, v118, s13, -v114
	v_fmac_f32_e32 v121, 0xbf4c4adb, v108
	v_add_f32_e32 v116, v125, v116
	v_fmac_f32_e32 v124, 0x3f4c4adb, v108
	v_add_f32_e32 v114, v114, v120
	v_add_f32_e32 v120, v121, v122
	v_mul_f32_e32 v121, 0x3f763a35, v109
	v_mul_f32_e32 v125, 0xbe8c1d8e, v119
	v_add_f32_e32 v124, v124, v126
	v_mov_b32_e32 v122, v121
	v_mov_b32_e32 v126, v125
	v_fma_f32 v121, v118, s12, -v121
	v_fmac_f32_e32 v125, 0x3f763a35, v108
	v_fmac_f32_e32 v122, 0xbe8c1d8e, v118
	v_add_f32_e32 v121, v121, v123
	v_add_f32_e32 v123, v125, v128
	v_mul_f32_e32 v125, 0xbeb8f4ab, v109
	v_add_f32_e32 v122, v122, v127
	v_mov_b32_e32 v127, v125
	v_fma_f32 v125, v118, s2, -v125
	v_fmac_f32_e32 v126, 0xbf763a35, v108
	v_fmac_f32_e32 v127, 0x3f6eb680, v118
	v_mul_f32_e32 v128, 0x3f6eb680, v119
	v_add_f32_e32 v125, v125, v129
	v_mul_f32_e32 v129, 0xbf06c442, v109
	v_add_f32_e32 v126, v126, v130
	v_add_f32_e32 v127, v127, v131
	v_mov_b32_e32 v130, v128
	v_fmac_f32_e32 v128, 0xbeb8f4ab, v108
	v_mov_b32_e32 v131, v129
	v_fma_f32 v129, v118, s14, -v129
	v_fmac_f32_e32 v130, 0x3eb8f4ab, v108
	v_add_f32_e32 v128, v128, v132
	v_fmac_f32_e32 v131, 0xbf59a7d5, v118
	v_mul_f32_e32 v132, 0xbf59a7d5, v119
	v_add_f32_e32 v129, v129, v133
	v_mul_f32_e32 v133, 0x3f7ee86f, v109
	v_add_f32_e32 v130, v130, v134
	v_add_f32_e32 v131, v131, v135
	v_mov_b32_e32 v134, v132
	v_fmac_f32_e32 v132, 0xbf06c442, v108
	v_mov_b32_e32 v135, v133
	v_fma_f32 v133, v118, s5, -v133
	v_fmac_f32_e32 v134, 0x3f06c442, v108
	v_add_f32_e32 v132, v132, v138
	;; [unrolled: 12-line block ×3, first 2 shown]
	v_fmac_f32_e32 v141, 0x3f3d2fb0, v118
	v_mul_f32_e32 v142, 0x3f3d2fb0, v119
	v_add_f32_e32 v140, v140, v144
	v_mul_f32_e32 v144, 0xbe3c28d5, v109
	v_add_f32_e32 v139, v139, v143
	v_add_f32_e32 v141, v141, v145
	v_mov_b32_e32 v143, v142
	v_fmac_f32_e32 v142, 0xbf2c7751, v108
	v_mov_b32_e32 v145, v144
	v_fma_f32 v144, v118, s15, -v144
	v_mul_f32_e32 v109, 0x3f65296c, v109
	v_fmac_f32_e32 v143, 0x3f2c7751, v108
	v_add_f32_e32 v142, v142, v146
	v_fmac_f32_e32 v145, 0xbf7ba420, v118
	v_mul_f32_e32 v146, 0xbf7ba420, v119
	v_add_f32_e32 v144, v144, v148
	v_mov_b32_e32 v148, v109
	v_mul_f32_e32 v119, 0x3ee437d1, v119
	v_fma_f32 v109, v118, s4, -v109
	v_add_f32_e32 v143, v143, v147
	v_add_f32_e32 v145, v145, v149
	v_mov_b32_e32 v147, v146
	v_mov_b32_e32 v149, v119
	v_add_f32_e32 v109, v109, v117
	v_fmac_f32_e32 v119, 0x3f65296c, v108
	v_add_f32_e32 v117, v113, v111
	v_sub_f32_e32 v111, v111, v113
	v_fmac_f32_e32 v147, 0x3e3c28d5, v108
	v_fmac_f32_e32 v146, 0xbe3c28d5, v108
	;; [unrolled: 1-line block ×3, first 2 shown]
	v_add_f32_e32 v108, v119, v116
	v_add_f32_e32 v116, v112, v110
	v_sub_f32_e32 v110, v110, v112
	v_mul_f32_e32 v112, 0xbf06c442, v111
	v_mov_b32_e32 v113, v112
	v_fmac_f32_e32 v113, 0xbf59a7d5, v116
	v_add_f32_e32 v113, v113, v115
	v_mul_f32_e32 v115, 0xbf59a7d5, v117
	v_fmac_f32_e32 v148, 0x3ee437d1, v118
	v_mov_b32_e32 v118, v115
	v_fma_f32 v112, v116, s14, -v112
	v_fmac_f32_e32 v115, 0xbf06c442, v110
	v_add_f32_e32 v112, v112, v114
	v_add_f32_e32 v114, v115, v120
	v_mul_f32_e32 v115, 0x3f65296c, v111
	v_mov_b32_e32 v119, v115
	v_fmac_f32_e32 v119, 0x3ee437d1, v116
	v_mul_f32_e32 v120, 0x3ee437d1, v117
	v_fma_f32 v115, v116, s4, -v115
	v_add_f32_e32 v119, v119, v122
	v_mov_b32_e32 v122, v120
	v_add_f32_e32 v115, v115, v121
	v_fmac_f32_e32 v120, 0x3f65296c, v110
	v_mul_f32_e32 v121, 0xbf7ee86f, v111
	v_fmac_f32_e32 v118, 0x3f06c442, v110
	v_add_f32_e32 v120, v120, v123
	v_mov_b32_e32 v123, v121
	v_fma_f32 v121, v116, s5, -v121
	v_add_f32_e32 v118, v118, v124
	v_fmac_f32_e32 v122, 0xbf65296c, v110
	v_fmac_f32_e32 v123, 0x3dbcf732, v116
	v_mul_f32_e32 v124, 0x3dbcf732, v117
	v_add_f32_e32 v121, v121, v125
	v_mul_f32_e32 v125, 0x3f4c4adb, v111
	v_add_f32_e32 v122, v122, v126
	v_add_f32_e32 v123, v123, v127
	v_mov_b32_e32 v126, v124
	v_fmac_f32_e32 v124, 0xbf7ee86f, v110
	v_mov_b32_e32 v127, v125
	v_fma_f32 v125, v116, s13, -v125
	v_fmac_f32_e32 v126, 0x3f7ee86f, v110
	v_add_f32_e32 v124, v124, v128
	v_fmac_f32_e32 v127, 0xbf1a4643, v116
	v_mul_f32_e32 v128, 0xbf1a4643, v117
	v_add_f32_e32 v125, v125, v129
	v_mul_f32_e32 v129, 0xbeb8f4ab, v111
	v_add_f32_e32 v126, v126, v130
	v_add_f32_e32 v127, v127, v131
	v_mov_b32_e32 v130, v128
	v_fmac_f32_e32 v128, 0x3f4c4adb, v110
	v_mov_b32_e32 v131, v129
	v_fma_f32 v129, v116, s2, -v129
	v_fmac_f32_e32 v130, 0xbf4c4adb, v110
	v_add_f32_e32 v128, v128, v132
	v_fmac_f32_e32 v131, 0x3f6eb680, v116
	v_mul_f32_e32 v132, 0x3f6eb680, v117
	v_add_f32_e32 v129, v129, v133
	v_mul_f32_e32 v133, 0xbe3c28d5, v111
	v_add_f32_e32 v130, v130, v134
	v_add_f32_e32 v131, v131, v135
	v_mov_b32_e32 v134, v132
	v_fmac_f32_e32 v132, 0xbeb8f4ab, v110
	v_mov_b32_e32 v135, v133
	v_fma_f32 v133, v116, s15, -v133
	v_add_f32_e32 v201, v201, v205
	v_fmac_f32_e32 v134, 0x3eb8f4ab, v110
	v_add_f32_e32 v132, v132, v138
	v_fmac_f32_e32 v135, 0xbf7ba420, v116
	v_mul_f32_e32 v138, 0xbf7ba420, v117
	v_add_f32_e32 v133, v133, v140
	v_mul_f32_e32 v140, 0x3f2c7751, v111
	v_add_f32_e32 v199, v199, v203
	v_add_f32_e32 v200, v200, v204
	;; [unrolled: 1-line block ×5, first 2 shown]
	v_mov_b32_e32 v139, v138
	v_fmac_f32_e32 v138, 0xbe3c28d5, v110
	v_mov_b32_e32 v141, v140
	v_add_f32_e32 v198, v198, v202
	v_add_f32_e32 v195, v195, v199
	;; [unrolled: 1-line block ×5, first 2 shown]
	v_fmac_f32_e32 v141, 0x3f3d2fb0, v116
	v_mul_f32_e32 v142, 0x3f3d2fb0, v117
	v_mul_f32_e32 v117, 0xbe8c1d8e, v117
	v_add_f32_e32 v194, v194, v198
	v_add_f32_e32 v191, v191, v195
	;; [unrolled: 1-line block ×5, first 2 shown]
	v_fma_f32 v140, v116, s3, -v140
	v_mul_f32_e32 v111, 0xbf763a35, v111
	v_mov_b32_e32 v145, v117
	v_add_f32_e32 v182, v182, v194
	v_add_f32_e32 v178, v178, v191
	;; [unrolled: 1-line block ×4, first 2 shown]
	v_fmac_f32_e32 v139, 0x3e3c28d5, v110
	v_add_f32_e32 v140, v140, v144
	v_mov_b32_e32 v144, v111
	v_fmac_f32_e32 v145, 0x3f763a35, v110
	v_add_f32_e32 v177, v177, v182
	v_add_f32_e32 v147, v147, v178
	;; [unrolled: 1-line block ×4, first 2 shown]
	v_mov_b32_e32 v143, v142
	v_fmac_f32_e32 v144, 0xbe8c1d8e, v116
	v_add_f32_e32 v145, v145, v149
	v_add_f32_e32 v149, v107, v105
	v_sub_f32_e32 v178, v105, v107
	v_add_f32_e32 v146, v146, v177
	v_fmac_f32_e32 v143, 0xbf2c7751, v110
	v_fmac_f32_e32 v142, 0x3f2c7751, v110
	v_add_f32_e32 v144, v144, v148
	v_fmac_f32_e32 v117, 0xbf763a35, v110
	v_add_f32_e32 v148, v106, v104
	v_sub_f32_e32 v177, v104, v106
	v_mul_f32_e32 v106, 0xbe3c28d5, v178
	v_mul_f32_e32 v107, 0xbf7ba420, v149
	;; [unrolled: 1-line block ×3, first 2 shown]
	v_add_f32_e32 v143, v143, v147
	v_fma_f32 v111, v116, s12, -v111
	v_add_f32_e32 v147, v117, v108
	v_mov_b32_e32 v104, v106
	v_mov_b32_e32 v105, v107
	v_fmac_f32_e32 v107, 0xbe3c28d5, v177
	v_mov_b32_e32 v108, v110
	v_fma_f32 v110, v148, s2, -v110
	v_add_f32_e32 v142, v142, v146
	v_add_f32_e32 v146, v111, v109
	v_fmac_f32_e32 v104, 0xbf7ba420, v148
	v_fma_f32 v106, v148, s15, -v106
	v_add_f32_e32 v107, v107, v114
	v_mul_f32_e32 v111, 0x3f6eb680, v149
	v_add_f32_e32 v110, v110, v115
	v_mul_f32_e32 v114, 0xbf06c442, v178
	v_mul_f32_e32 v115, 0xbf59a7d5, v149
	v_add_f32_e32 v104, v104, v113
	v_add_f32_e32 v106, v106, v112
	v_mov_b32_e32 v109, v111
	v_mov_b32_e32 v112, v114
	;; [unrolled: 1-line block ×3, first 2 shown]
	v_fmac_f32_e32 v105, 0x3e3c28d5, v177
	v_fmac_f32_e32 v108, 0x3f6eb680, v148
	;; [unrolled: 1-line block ×5, first 2 shown]
	v_add_f32_e32 v105, v105, v118
	v_add_f32_e32 v108, v108, v119
	;; [unrolled: 1-line block ×3, first 2 shown]
	v_fmac_f32_e32 v111, 0x3eb8f4ab, v177
	v_add_f32_e32 v112, v112, v123
	v_add_f32_e32 v113, v113, v126
	v_fma_f32 v114, v148, s14, -v114
	v_fmac_f32_e32 v115, 0xbf06c442, v177
	v_mul_f32_e32 v118, 0x3f2c7751, v178
	v_mul_f32_e32 v119, 0x3f3d2fb0, v149
	;; [unrolled: 1-line block ×5, first 2 shown]
	v_add_f32_e32 v111, v111, v120
	v_add_f32_e32 v114, v114, v121
	;; [unrolled: 1-line block ×3, first 2 shown]
	v_mov_b32_e32 v116, v118
	v_mov_b32_e32 v117, v119
	;; [unrolled: 1-line block ×5, first 2 shown]
	v_fmac_f32_e32 v116, 0x3f3d2fb0, v148
	v_fmac_f32_e32 v117, 0xbf2c7751, v177
	v_fmac_f32_e32 v120, 0xbf1a4643, v148
	v_fmac_f32_e32 v121, 0x3f4c4adb, v177
	v_fmac_f32_e32 v124, 0x3ee437d1, v148
	v_add_f32_e32 v116, v116, v127
	v_add_f32_e32 v117, v117, v130
	v_fma_f32 v118, v148, s3, -v118
	v_fmac_f32_e32 v119, 0x3f2c7751, v177
	v_add_f32_e32 v120, v120, v131
	v_add_f32_e32 v121, v121, v134
	v_fma_f32 v122, v148, s13, -v122
	v_fmac_f32_e32 v123, 0xbf4c4adb, v177
	v_add_f32_e32 v124, v124, v135
	v_mul_f32_e32 v127, 0x3ee437d1, v149
	v_fma_f32 v126, v148, s4, -v126
	v_mul_f32_e32 v130, 0xbf763a35, v178
	v_mul_f32_e32 v131, 0xbe8c1d8e, v149
	;; [unrolled: 1-line block ×4, first 2 shown]
	v_add_f32_e32 v118, v118, v125
	v_add_f32_e32 v119, v119, v128
	;; [unrolled: 1-line block ×4, first 2 shown]
	v_mov_b32_e32 v125, v127
	v_add_f32_e32 v126, v126, v133
	v_mov_b32_e32 v128, v130
	v_mov_b32_e32 v129, v131
	;; [unrolled: 1-line block ×4, first 2 shown]
	v_add_u32_e32 v187, 0x110, v180
	v_add_u32_e32 v186, 0x198, v180
	;; [unrolled: 1-line block ×3, first 2 shown]
	v_fmac_f32_e32 v125, 0xbf65296c, v177
	v_fmac_f32_e32 v127, 0x3f65296c, v177
	;; [unrolled: 1-line block ×4, first 2 shown]
	v_fma_f32 v130, v148, s12, -v130
	v_fmac_f32_e32 v131, 0xbf763a35, v177
	v_fmac_f32_e32 v132, 0x3dbcf732, v148
	v_fmac_f32_e32 v133, 0xbf7ee86f, v177
	v_fma_f32 v134, v148, s5, -v134
	v_fmac_f32_e32 v135, 0x3f7ee86f, v177
	v_add_f32_e32 v125, v125, v139
	v_add_f32_e32 v127, v127, v138
	;; [unrolled: 1-line block ×10, first 2 shown]
	s_waitcnt lgkmcnt(0)
	; wave barrier
	ds_write2_b64 v184, v[175:176], v[104:105] offset1:1
	ds_write2_b64 v184, v[108:109], v[112:113] offset0:2 offset1:3
	ds_write2_b64 v184, v[116:117], v[120:121] offset0:4 offset1:5
	;; [unrolled: 1-line block ×7, first 2 shown]
	ds_write_b64 v184, v[106:107] offset:128
	s_and_saveexec_b64 s[0:1], vcc
	s_cbranch_execz .LBB0_13
; %bb.12:
	v_add_f32_e32 v138, v151, v91
	v_mul_f32_e32 v132, 0xbf7ba420, v138
	v_add_f32_e32 v139, v3, v97
	v_sub_f32_e32 v116, v90, v150
	v_mov_b32_e32 v104, v132
	v_mul_f32_e32 v133, 0x3f6eb680, v139
	v_fmac_f32_e32 v104, 0x3e3c28d5, v116
	v_sub_f32_e32 v117, v96, v2
	v_mov_b32_e32 v105, v133
	v_add_f32_e32 v140, v1, v99
	v_add_f32_e32 v104, v89, v104
	v_fmac_f32_e32 v105, 0xbeb8f4ab, v117
	v_mul_f32_e32 v134, 0xbf59a7d5, v140
	v_add_f32_e32 v104, v105, v104
	v_sub_f32_e32 v118, v98, v0
	v_mov_b32_e32 v105, v134
	v_add_f32_e32 v141, v7, v101
	v_fmac_f32_e32 v105, 0x3f06c442, v118
	v_mul_f32_e32 v135, 0x3f3d2fb0, v141
	v_add_f32_e32 v104, v105, v104
	v_sub_f32_e32 v119, v100, v6
	v_mov_b32_e32 v105, v135
	;; [unrolled: 6-line block ×6, first 2 shown]
	v_sub_f32_e32 v146, v91, v151
	v_fmac_f32_e32 v105, 0xbf7ee86f, v123
	v_mul_f32_e32 v184, 0xbe3c28d5, v146
	v_sub_f32_e32 v147, v97, v3
	v_add_f32_e32 v164, v105, v104
	v_add_f32_e32 v124, v150, v90
	v_mov_b32_e32 v104, v184
	v_mul_f32_e32 v186, 0x3eb8f4ab, v147
	v_fmac_f32_e32 v104, 0xbf7ba420, v124
	v_add_f32_e32 v125, v2, v96
	v_mov_b32_e32 v106, v186
	v_sub_f32_e32 v148, v99, v1
	v_add_f32_e32 v104, v88, v104
	v_fmac_f32_e32 v106, 0x3f6eb680, v125
	v_mul_f32_e32 v187, 0xbf06c442, v148
	v_add_f32_e32 v104, v106, v104
	v_add_f32_e32 v126, v0, v98
	v_mov_b32_e32 v106, v187
	v_fmac_f32_e32 v106, 0xbf59a7d5, v126
	v_sub_f32_e32 v149, v101, v7
	v_add_f32_e32 v104, v106, v104
	v_add_f32_e32 v127, v6, v100
	v_mul_f32_e32 v106, 0x3f2c7751, v149
	buffer_store_dword v106, off, s[20:23], 0 offset:152 ; 4-byte Folded Spill
	v_fmac_f32_e32 v106, 0x3f3d2fb0, v127
	v_sub_f32_e32 v179, v103, v5
	v_add_f32_e32 v104, v106, v104
	v_add_f32_e32 v128, v4, v102
	v_mul_f32_e32 v106, 0xbf4c4adb, v179
	buffer_store_dword v106, off, s[20:23], 0 offset:156 ; 4-byte Folded Spill
	v_fmac_f32_e32 v106, 0xbf1a4643, v128
	v_sub_f32_e32 v181, v93, v11
	v_add_f32_e32 v104, v106, v104
	v_add_f32_e32 v129, v10, v92
	v_mul_f32_e32 v106, 0x3f65296c, v181
	buffer_store_dword v106, off, s[20:23], 0 offset:160 ; 4-byte Folded Spill
	v_fmac_f32_e32 v106, 0x3ee437d1, v129
	v_sub_f32_e32 v182, v95, v9
	v_add_f32_e32 v104, v106, v104
	v_add_f32_e32 v130, v8, v94
	v_mul_f32_e32 v106, 0xbf763a35, v182
	buffer_store_dword v106, off, s[20:23], 0 offset:164 ; 4-byte Folded Spill
	v_fmac_f32_e32 v106, 0xbe8c1d8e, v130
	v_sub_f32_e32 v208, v13, v15
	v_add_f32_e32 v104, v106, v104
	v_add_f32_e32 v131, v14, v12
	v_mul_f32_e32 v106, 0x3f7ee86f, v208
	buffer_store_dword v106, off, s[20:23], 0 offset:168 ; 4-byte Folded Spill
	v_fmac_f32_e32 v106, 0x3dbcf732, v131
	v_mul_f32_e32 v198, 0xbf59a7d5, v138
	v_add_f32_e32 v163, v106, v104
	v_mov_b32_e32 v106, v198
	v_mul_f32_e32 v199, 0x3ee437d1, v139
	v_fmac_f32_e32 v106, 0x3f06c442, v116
	v_mov_b32_e32 v107, v199
	v_add_f32_e32 v106, v89, v106
	v_fmac_f32_e32 v107, 0xbf65296c, v117
	v_mul_f32_e32 v200, 0x3dbcf732, v140
	v_add_f32_e32 v106, v107, v106
	v_mov_b32_e32 v107, v200
	v_fmac_f32_e32 v107, 0x3f7ee86f, v118
	v_mul_f32_e32 v201, 0xbf1a4643, v141
	v_add_f32_e32 v106, v107, v106
	v_mov_b32_e32 v107, v201
	;; [unrolled: 4-line block ×6, first 2 shown]
	v_fmac_f32_e32 v107, 0x3f763a35, v123
	v_add_f32_e32 v231, v107, v106
	v_mul_f32_e32 v106, 0xbf06c442, v146
	buffer_store_dword v106, off, s[20:23], 0 offset:172 ; 4-byte Folded Spill
	v_fmac_f32_e32 v106, 0xbf59a7d5, v124
	v_mul_f32_e32 v108, 0x3f65296c, v147
	v_add_f32_e32 v106, v88, v106
	buffer_store_dword v108, off, s[20:23], 0 offset:176 ; 4-byte Folded Spill
	v_fmac_f32_e32 v108, 0x3ee437d1, v125
	v_add_f32_e32 v106, v108, v106
	v_mul_f32_e32 v108, 0xbf7ee86f, v148
	buffer_store_dword v108, off, s[20:23], 0 offset:180 ; 4-byte Folded Spill
	v_fmac_f32_e32 v108, 0x3dbcf732, v126
	v_add_f32_e32 v106, v108, v106
	v_mul_f32_e32 v108, 0x3f4c4adb, v149
	;; [unrolled: 4-line block ×6, first 2 shown]
	buffer_store_dword v108, off, s[20:23], 0 offset:200 ; 4-byte Folded Spill
	v_fmac_f32_e32 v108, 0xbe8c1d8e, v131
	v_mul_f32_e32 v218, 0xbf1a4643, v138
	v_add_f32_e32 v230, v108, v106
	v_mov_b32_e32 v108, v218
	v_mul_f32_e32 v219, 0xbe8c1d8e, v139
	v_fmac_f32_e32 v108, 0x3f4c4adb, v116
	v_mov_b32_e32 v109, v219
	v_add_f32_e32 v108, v89, v108
	v_fmac_f32_e32 v109, 0xbf763a35, v117
	v_mul_f32_e32 v220, 0x3f6eb680, v140
	v_add_f32_e32 v108, v109, v108
	v_mov_b32_e32 v109, v220
	v_fmac_f32_e32 v109, 0x3eb8f4ab, v118
	v_mul_f32_e32 v221, 0xbf59a7d5, v141
	v_add_f32_e32 v108, v109, v108
	v_mov_b32_e32 v109, v221
	;; [unrolled: 4-line block ×6, first 2 shown]
	v_fmac_f32_e32 v109, 0xbf65296c, v123
	v_add_f32_e32 v246, v109, v108
	v_mul_f32_e32 v108, 0xbf4c4adb, v146
	buffer_store_dword v108, off, s[20:23], 0 offset:204 ; 4-byte Folded Spill
	v_fmac_f32_e32 v108, 0xbf1a4643, v124
	v_mul_f32_e32 v110, 0x3f763a35, v147
	v_add_f32_e32 v108, v88, v108
	buffer_store_dword v110, off, s[20:23], 0 offset:208 ; 4-byte Folded Spill
	v_fmac_f32_e32 v110, 0xbe8c1d8e, v125
	v_add_f32_e32 v108, v110, v108
	v_mul_f32_e32 v110, 0xbeb8f4ab, v148
	buffer_store_dword v110, off, s[20:23], 0 offset:212 ; 4-byte Folded Spill
	v_fmac_f32_e32 v110, 0x3f6eb680, v126
	v_add_f32_e32 v108, v110, v108
	v_mul_f32_e32 v110, 0xbf06c442, v149
	buffer_store_dword v110, off, s[20:23], 0 offset:216 ; 4-byte Folded Spill
	v_fmac_f32_e32 v110, 0xbf59a7d5, v127
	v_add_f32_e32 v108, v110, v108
	v_mul_f32_e32 v110, 0x3f7ee86f, v179
	buffer_store_dword v110, off, s[20:23], 0 offset:220 ; 4-byte Folded Spill
	v_fmac_f32_e32 v110, 0x3dbcf732, v128
	v_add_f32_e32 v108, v110, v108
	v_mul_f32_e32 v110, 0xbf2c7751, v181
	buffer_store_dword v110, off, s[20:23], 0 offset:224 ; 4-byte Folded Spill
	v_fmac_f32_e32 v110, 0x3f3d2fb0, v129
	v_add_f32_e32 v108, v110, v108
	v_mul_f32_e32 v110, 0xbe3c28d5, v182
	buffer_store_dword v110, off, s[20:23], 0 offset:228 ; 4-byte Folded Spill
	v_fmac_f32_e32 v110, 0xbf7ba420, v130
	v_add_f32_e32 v108, v110, v108
	v_mul_f32_e32 v110, 0x3f65296c, v208
	buffer_store_dword v110, off, s[20:23], 0 offset:232 ; 4-byte Folded Spill
	v_fmac_f32_e32 v110, 0x3ee437d1, v131
	v_mul_f32_e32 v234, 0xbe8c1d8e, v138
	v_add_f32_e32 v245, v110, v108
	v_mov_b32_e32 v110, v234
	v_mul_f32_e32 v235, 0xbf59a7d5, v139
	v_fmac_f32_e32 v110, 0x3f763a35, v116
	v_mov_b32_e32 v111, v235
	v_add_f32_e32 v110, v89, v110
	v_fmac_f32_e32 v111, 0xbf06c442, v117
	v_mul_f32_e32 v236, 0x3f3d2fb0, v140
	v_add_f32_e32 v110, v111, v110
	v_mov_b32_e32 v111, v236
	v_fmac_f32_e32 v111, 0xbf2c7751, v118
	v_mul_f32_e32 v237, 0x3ee437d1, v141
	v_add_f32_e32 v110, v111, v110
	v_mov_b32_e32 v111, v237
	;; [unrolled: 4-line block ×6, first 2 shown]
	v_fmac_f32_e32 v111, 0x3f4c4adb, v123
	v_add_f32_e32 v105, v111, v110
	v_mul_f32_e32 v110, 0xbf763a35, v146
	buffer_store_dword v110, off, s[20:23], 0 offset:244 ; 4-byte Folded Spill
	v_fmac_f32_e32 v110, 0xbe8c1d8e, v124
	v_mul_f32_e32 v112, 0x3f06c442, v147
	v_add_f32_e32 v110, v88, v110
	buffer_store_dword v112, off, s[20:23], 0 offset:248 ; 4-byte Folded Spill
	v_fmac_f32_e32 v112, 0xbf59a7d5, v125
	v_add_f32_e32 v110, v112, v110
	v_mul_f32_e32 v112, 0x3f2c7751, v148
	buffer_store_dword v112, off, s[20:23], 0 offset:252 ; 4-byte Folded Spill
	v_fmac_f32_e32 v112, 0x3f3d2fb0, v126
	v_add_f32_e32 v110, v112, v110
	v_mul_f32_e32 v112, 0xbf65296c, v149
	buffer_store_dword v112, off, s[20:23], 0 offset:256 ; 4-byte Folded Spill
	v_fmac_f32_e32 v112, 0x3ee437d1, v127
	v_mul_f32_e32 v111, 0xbe3c28d5, v179
	v_add_f32_e32 v110, v112, v110
	v_mov_b32_e32 v112, v111
	v_fmac_f32_e32 v112, 0xbf7ba420, v128
	v_mul_f32_e32 v247, 0x3f7ee86f, v181
	v_add_f32_e32 v110, v112, v110
	v_mov_b32_e32 v112, v247
	v_mov_b32_e32 v213, v248
	v_add_f32_e32 v91, v91, v89
	v_fmac_f32_e32 v112, 0x3dbcf732, v129
	v_mov_b32_e32 v214, v249
	v_mul_f32_e32 v249, 0xbeb8f4ab, v182
	v_add_f32_e32 v91, v97, v91
	v_add_f32_e32 v110, v112, v110
	v_mov_b32_e32 v112, v249
	v_add_f32_e32 v91, v99, v91
	v_fmac_f32_e32 v112, 0x3f6eb680, v130
	v_mul_f32_e32 v229, 0xbf4c4adb, v208
	v_add_f32_e32 v91, v101, v91
	v_add_f32_e32 v110, v112, v110
	v_mov_b32_e32 v112, v229
	v_add_f32_e32 v91, v103, v91
	v_fmac_f32_e32 v112, 0xbf1a4643, v131
	v_mul_f32_e32 v250, 0x3dbcf732, v138
	v_add_f32_e32 v91, v93, v91
	v_add_f32_e32 v104, v112, v110
	v_mov_b32_e32 v112, v250
	v_mul_f32_e32 v251, 0xbf7ba420, v139
	v_add_f32_e32 v91, v95, v91
	v_fmac_f32_e32 v112, 0x3f7ee86f, v116
	v_mov_b32_e32 v113, v251
	v_add_f32_e32 v13, v13, v91
	v_add_f32_e32 v112, v89, v112
	v_fmac_f32_e32 v113, 0x3e3c28d5, v117
	v_mul_f32_e32 v252, 0xbe8c1d8e, v140
	v_add_f32_e32 v13, v15, v13
	v_add_f32_e32 v112, v113, v112
	v_mov_b32_e32 v113, v252
	v_add_f32_e32 v9, v9, v13
	v_fmac_f32_e32 v113, 0xbf763a35, v118
	v_mul_f32_e32 v253, 0x3f6eb680, v141
	v_add_f32_e32 v9, v11, v9
	v_add_f32_e32 v112, v113, v112
	v_mov_b32_e32 v113, v253
	;; [unrolled: 6-line block ×3, first 2 shown]
	v_add_f32_e32 v1, v1, v5
	v_fmac_f32_e32 v113, 0x3f65296c, v120
	v_mul_f32_e32 v255, 0xbf59a7d5, v143
	v_add_f32_e32 v1, v3, v1
	v_add_f32_e32 v3, v90, v88
	;; [unrolled: 1-line block ×3, first 2 shown]
	v_mov_b32_e32 v113, v255
	v_add_f32_e32 v3, v96, v3
	v_fmac_f32_e32 v113, 0x3f06c442, v121
	v_mul_f32_e32 v188, 0xbf1a4643, v144
	v_add_f32_e32 v3, v98, v3
	v_add_f32_e32 v112, v113, v112
	v_mov_b32_e32 v113, v188
	v_add_f32_e32 v3, v100, v3
	v_fmac_f32_e32 v113, 0xbf4c4adb, v122
	v_mul_f32_e32 v189, 0x3f3d2fb0, v145
	v_add_f32_e32 v3, v102, v3
	v_add_f32_e32 v112, v113, v112
	v_mov_b32_e32 v113, v189
	v_add_f32_e32 v3, v92, v3
	buffer_store_dword v104, off, s[20:23], 0 offset:144 ; 4-byte Folded Spill
	s_nop 0
	buffer_store_dword v105, off, s[20:23], 0 offset:148 ; 4-byte Folded Spill
	v_fmac_f32_e32 v113, 0xbf2c7751, v123
	v_mul_f32_e32 v228, 0xbf7ee86f, v146
	v_add_f32_e32 v3, v94, v3
	v_add_f32_e32 v105, v113, v112
	v_mov_b32_e32 v112, v228
	v_mul_f32_e32 v227, 0xbe3c28d5, v147
	v_add_f32_e32 v3, v12, v3
	v_fmac_f32_e32 v112, 0x3dbcf732, v124
	v_mov_b32_e32 v114, v227
	v_add_f32_e32 v3, v14, v3
	v_add_f32_e32 v112, v88, v112
	v_fmac_f32_e32 v114, 0xbf7ba420, v125
	v_mul_f32_e32 v217, 0x3f763a35, v148
	v_add_f32_e32 v3, v8, v3
	v_add_f32_e32 v112, v114, v112
	v_mov_b32_e32 v114, v217
	v_add_f32_e32 v3, v10, v3
	v_fmac_f32_e32 v114, 0xbe8c1d8e, v126
	v_mul_f32_e32 v193, 0x3eb8f4ab, v149
	v_add_f32_e32 v3, v4, v3
	v_add_f32_e32 v112, v114, v112
	v_mov_b32_e32 v114, v193
	v_add_f32_e32 v3, v6, v3
	v_fmac_f32_e32 v114, 0x3f6eb680, v127
	v_mul_f32_e32 v215, 0xbf65296c, v179
	v_add_f32_e32 v0, v0, v3
	v_fmac_f32_e32 v132, 0xbe3c28d5, v116
	v_add_f32_e32 v112, v114, v112
	v_mov_b32_e32 v114, v215
	v_add_f32_e32 v0, v2, v0
	v_add_f32_e32 v2, v89, v132
	v_fmac_f32_e32 v133, 0x3eb8f4ab, v117
	v_fmac_f32_e32 v114, 0x3ee437d1, v128
	v_mul_f32_e32 v232, 0xbf06c442, v181
	v_add_f32_e32 v2, v133, v2
	v_fmac_f32_e32 v134, 0xbf06c442, v118
	v_add_f32_e32 v112, v114, v112
	v_mov_b32_e32 v114, v232
	v_add_f32_e32 v2, v134, v2
	v_fmac_f32_e32 v135, 0x3f2c7751, v119
	v_fmac_f32_e32 v114, 0xbf59a7d5, v129
	v_mul_f32_e32 v211, 0x3f4c4adb, v182
	v_add_f32_e32 v2, v135, v2
	v_fmac_f32_e32 v175, 0xbf4c4adb, v120
	v_add_f32_e32 v112, v114, v112
	v_mov_b32_e32 v114, v211
	;; [unrolled: 8-line block ×3, first 2 shown]
	v_add_f32_e32 v2, v177, v2
	v_fmac_f32_e32 v178, 0x3f7ee86f, v123
	v_fmac_f32_e32 v114, 0x3f3d2fb0, v131
	v_add_f32_e32 v3, v178, v2
	v_fma_f32 v2, v124, s15, -v184
	v_add_f32_e32 v104, v114, v112
	v_add_f32_e32 v2, v88, v2
	v_fma_f32 v4, v125, s2, -v186
	buffer_store_dword v104, off, s[20:23], 0 offset:236 ; 4-byte Folded Spill
	s_nop 0
	buffer_store_dword v105, off, s[20:23], 0 offset:240 ; 4-byte Folded Spill
	buffer_store_dword v154, off, s[20:23], 0 offset:128 ; 4-byte Folded Spill
	;; [unrolled: 1-line block ×5, first 2 shown]
	v_add_f32_e32 v2, v4, v2
	v_fma_f32 v4, v126, s14, -v187
	v_add_f32_e32 v2, v4, v2
	buffer_load_dword v4, off, s[20:23], 0 offset:152 ; 4-byte Folded Reload
	buffer_load_dword v6, off, s[20:23], 0 offset:176 ; 4-byte Folded Reload
	;; [unrolled: 1-line block ×4, first 2 shown]
	v_fmac_f32_e32 v198, 0xbf06c442, v116
	v_fmac_f32_e32 v199, 0x3f65296c, v117
	;; [unrolled: 1-line block ×24, first 2 shown]
	v_mul_f32_e32 v154, 0x3ee437d1, v138
	v_mov_b32_e32 v114, v154
	v_mul_f32_e32 v155, 0xbf1a4643, v139
	v_fmac_f32_e32 v114, 0x3f65296c, v116
	v_mov_b32_e32 v115, v155
	v_add_f32_e32 v114, v89, v114
	v_fmac_f32_e32 v115, 0x3f4c4adb, v117
	v_mul_f32_e32 v156, 0xbf7ba420, v140
	v_add_f32_e32 v114, v115, v114
	v_mov_b32_e32 v115, v156
	v_fmac_f32_e32 v115, 0xbe3c28d5, v118
	v_mul_f32_e32 v157, 0xbe8c1d8e, v141
	v_add_f32_e32 v114, v115, v114
	v_mov_b32_e32 v115, v157
	;; [unrolled: 4-line block ×7, first 2 shown]
	v_mul_f32_e32 v197, 0xbf4c4adb, v147
	v_fmac_f32_e32 v114, 0x3ee437d1, v124
	v_mov_b32_e32 v206, v197
	v_mul_f32_e32 v210, 0x3e3c28d5, v148
	v_mov_b32_e32 v191, v166
	v_add_f32_e32 v114, v88, v114
	v_fmac_f32_e32 v206, 0xbf1a4643, v125
	v_mov_b32_e32 v190, v165
	v_mov_b32_e32 v166, v210
	v_mul_f32_e32 v196, 0x3f763a35, v149
	v_add_f32_e32 v114, v206, v114
	v_fmac_f32_e32 v166, 0xbf7ba420, v126
	v_mov_b32_e32 v206, v196
	v_mul_f32_e32 v167, 0x3f2c7751, v179
	v_add_f32_e32 v114, v166, v114
	v_fmac_f32_e32 v206, 0xbe8c1d8e, v127
	v_mov_b32_e32 v168, v167
	v_add_f32_e32 v114, v206, v114
	s_waitcnt vmcnt(3)
	v_fma_f32 v4, v127, s3, -v4
	v_add_f32_e32 v2, v4, v2
	buffer_load_dword v4, off, s[20:23], 0 offset:156 ; 4-byte Folded Reload
	s_waitcnt vmcnt(3)
	v_fma_f32 v6, v125, s4, -v6
	s_waitcnt vmcnt(2)
	v_fma_f32 v8, v125, s12, -v8
	;; [unrolled: 2-line block ×3, first 2 shown]
	v_fmac_f32_e32 v168, 0x3f3d2fb0, v128
	v_add_f32_e32 v114, v168, v114
	v_mul_f32_e32 v168, 0xbeb8f4ab, v181
	v_mov_b32_e32 v206, v168
	v_mul_f32_e32 v169, 0xbf7ee86f, v182
	v_fmac_f32_e32 v206, 0x3f6eb680, v129
	v_mov_b32_e32 v170, v169
	v_mul_f32_e32 v171, 0x3f3d2fb0, v138
	v_add_f32_e32 v114, v206, v114
	v_fmac_f32_e32 v170, 0x3dbcf732, v130
	v_mov_b32_e32 v172, v171
	v_mul_f32_e32 v173, 0x3dbcf732, v139
	v_add_f32_e32 v114, v170, v114
	v_mul_f32_e32 v170, 0xbf06c442, v208
	v_fmac_f32_e32 v172, 0x3f2c7751, v116
	v_mov_b32_e32 v174, v173
	v_mov_b32_e32 v206, v170
	v_add_f32_e32 v172, v89, v172
	v_fmac_f32_e32 v174, 0x3f7ee86f, v117
	v_fmac_f32_e32 v206, 0xbf59a7d5, v131
	v_add_f32_e32 v172, v174, v172
	v_mul_f32_e32 v174, 0xbf1a4643, v140
	v_add_f32_e32 v194, v206, v114
	v_mov_b32_e32 v206, v174
	v_mul_f32_e32 v158, 0xbf7ba420, v141
	v_fmac_f32_e32 v206, 0x3f4c4adb, v118
	v_mov_b32_e32 v105, v158
	v_add_f32_e32 v172, v206, v172
	v_fmac_f32_e32 v105, 0x3e3c28d5, v119
	v_add_f32_e32 v105, v105, v172
	v_mul_f32_e32 v172, 0xbf59a7d5, v142
	v_mov_b32_e32 v206, v172
	v_mul_f32_e32 v242, 0xbe8c1d8e, v143
	v_fmac_f32_e32 v206, 0xbf06c442, v120
	v_mov_b32_e32 v107, v242
	v_add_f32_e32 v105, v206, v105
	v_fmac_f32_e32 v107, 0xbf763a35, v121
	v_add_f32_e32 v105, v107, v105
	v_mul_f32_e32 v107, 0x3ee437d1, v144
	v_mov_b32_e32 v206, v107
	v_fmac_f32_e32 v206, 0xbf65296c, v122
	v_mul_f32_e32 v248, 0x3f6eb680, v145
	v_add_f32_e32 v105, v206, v105
	v_mov_b32_e32 v206, v248
	v_fmac_f32_e32 v250, 0xbf7ee86f, v116
	v_fmac_f32_e32 v206, 0xbeb8f4ab, v123
	v_mul_f32_e32 v216, 0xbf2c7751, v146
	v_fmac_f32_e32 v251, 0xbe3c28d5, v117
	v_add_f32_e32 v207, v206, v105
	v_mov_b32_e32 v206, v216
	v_mul_f32_e32 v166, 0xbf7ee86f, v147
	v_fmac_f32_e32 v252, 0x3f763a35, v118
	v_fmac_f32_e32 v206, 0x3f3d2fb0, v124
	v_mov_b32_e32 v109, v166
	v_mul_f32_e32 v165, 0xbf4c4adb, v148
	v_fmac_f32_e32 v253, 0x3eb8f4ab, v119
	v_add_f32_e32 v206, v88, v206
	v_fmac_f32_e32 v109, 0x3dbcf732, v125
	v_mov_b32_e32 v110, v165
	v_fmac_f32_e32 v254, 0xbf65296c, v120
	v_add_f32_e32 v109, v109, v206
	v_fmac_f32_e32 v110, 0xbf1a4643, v126
	v_fmac_f32_e32 v255, 0xbf06c442, v121
	v_add_f32_e32 v109, v110, v109
	v_mul_f32_e32 v110, 0xbe3c28d5, v149
	v_fmac_f32_e32 v188, 0x3f4c4adb, v122
	v_mov_b32_e32 v206, v110
	v_fmac_f32_e32 v189, 0x3f2c7751, v123
	v_fmac_f32_e32 v206, 0xbf7ba420, v127
	v_mul_f32_e32 v108, 0x3f06c442, v179
	v_add_f32_e32 v109, v206, v109
	v_mov_b32_e32 v206, v108
	v_fma_f32 v12, v125, s15, -v227
	v_fmac_f32_e32 v206, 0xbf59a7d5, v128
	v_mul_f32_e32 v106, 0x3f763a35, v181
	v_add_f32_e32 v109, v206, v109
	s_waitcnt vmcnt(0)
	v_fma_f32 v4, v128, s13, -v4
	v_add_f32_e32 v2, v4, v2
	buffer_load_dword v4, off, s[20:23], 0 offset:160 ; 4-byte Folded Reload
	v_mov_b32_e32 v206, v106
	v_mul_f32_e32 v105, 0x3f65296c, v182
	v_fmac_f32_e32 v206, 0xbe8c1d8e, v129
	v_mov_b32_e32 v113, v105
	v_add_f32_e32 v109, v206, v109
	v_fmac_f32_e32 v113, 0x3ee437d1, v130
	v_add_f32_e32 v109, v113, v109
	v_mul_f32_e32 v113, 0x3eb8f4ab, v208
	v_mov_b32_e32 v206, v113
	v_fmac_f32_e32 v154, 0xbf65296c, v116
	v_fmac_f32_e32 v206, 0x3f6eb680, v131
	;; [unrolled: 1-line block ×3, first 2 shown]
	v_add_f32_e32 v206, v206, v109
	v_mul_f32_e32 v109, 0x3f6eb680, v138
	v_fmac_f32_e32 v156, 0x3e3c28d5, v118
	v_mov_b32_e32 v138, v109
	v_mul_f32_e32 v139, 0x3f3d2fb0, v139
	v_fmac_f32_e32 v157, 0x3f763a35, v119
	v_fmac_f32_e32 v138, 0x3eb8f4ab, v116
	v_mov_b32_e32 v209, v139
	v_fmac_f32_e32 v159, 0x3f2c7751, v120
	v_add_f32_e32 v138, v89, v138
	v_fmac_f32_e32 v209, 0x3f2c7751, v117
	v_mul_f32_e32 v140, 0x3ee437d1, v140
	v_fmac_f32_e32 v160, 0xbeb8f4ab, v121
	v_add_f32_e32 v138, v209, v138
	v_mov_b32_e32 v209, v140
	v_fmac_f32_e32 v161, 0xbf7ee86f, v122
	v_fmac_f32_e32 v209, 0x3f65296c, v118
	v_mul_f32_e32 v141, 0x3dbcf732, v141
	v_fmac_f32_e32 v162, 0xbf06c442, v123
	v_add_f32_e32 v138, v209, v138
	v_mov_b32_e32 v209, v141
	v_fmac_f32_e32 v209, 0x3f7ee86f, v119
	v_mul_f32_e32 v142, 0xbe8c1d8e, v142
	v_fma_f32 v14, v125, s13, -v197
	v_add_f32_e32 v138, v209, v138
	v_mov_b32_e32 v209, v142
	v_fmac_f32_e32 v209, 0x3f763a35, v120
	v_mul_f32_e32 v143, 0xbf1a4643, v143
	v_add_f32_e32 v138, v209, v138
	v_mov_b32_e32 v209, v143
	v_fmac_f32_e32 v209, 0x3f4c4adb, v121
	v_mul_f32_e32 v144, 0xbf59a7d5, v144
	;; [unrolled: 4-line block ×3, first 2 shown]
	v_fmac_f32_e32 v171, 0xbf2c7751, v116
	v_add_f32_e32 v138, v209, v138
	v_mov_b32_e32 v209, v145
	v_fmac_f32_e32 v173, 0xbf7ee86f, v117
	v_fmac_f32_e32 v209, 0x3e3c28d5, v123
	v_fmac_f32_e32 v174, 0xbf4c4adb, v118
	v_add_f32_e32 v209, v209, v138
	v_mul_f32_e32 v138, 0xbeb8f4ab, v146
	v_fmac_f32_e32 v158, 0xbe3c28d5, v119
	v_mov_b32_e32 v146, v138
	v_mul_f32_e32 v104, 0xbf2c7751, v147
	v_fmac_f32_e32 v172, 0x3f06c442, v120
	v_fmac_f32_e32 v146, 0x3f6eb680, v124
	v_mov_b32_e32 v147, v104
	v_fmac_f32_e32 v242, 0x3f763a35, v121
	v_add_f32_e32 v146, v88, v146
	v_fmac_f32_e32 v147, 0x3f3d2fb0, v125
	v_fmac_f32_e32 v107, 0x3f65296c, v122
	v_add_f32_e32 v146, v147, v146
	v_mul_f32_e32 v147, 0xbf65296c, v148
	v_fmac_f32_e32 v248, 0x3eb8f4ab, v123
	v_mov_b32_e32 v148, v147
	v_fmac_f32_e32 v148, 0x3ee437d1, v126
	v_fma_f32 v90, v125, s5, -v166
	v_add_f32_e32 v146, v148, v146
	v_mul_f32_e32 v148, 0xbf7ee86f, v149
	v_mov_b32_e32 v149, v148
	v_fmac_f32_e32 v149, 0x3dbcf732, v127
	v_add_f32_e32 v146, v149, v146
	v_mul_f32_e32 v149, 0xbf763a35, v179
	v_mov_b32_e32 v179, v149
	s_waitcnt vmcnt(0)
	v_fma_f32 v4, v129, s4, -v4
	v_add_f32_e32 v2, v4, v2
	buffer_load_dword v4, off, s[20:23], 0 offset:164 ; 4-byte Folded Reload
	v_fmac_f32_e32 v179, 0xbe8c1d8e, v128
	v_add_f32_e32 v146, v179, v146
	v_mul_f32_e32 v179, 0xbf4c4adb, v181
	v_mov_b32_e32 v181, v179
	v_fmac_f32_e32 v181, 0xbf1a4643, v129
	v_add_f32_e32 v146, v181, v146
	v_mul_f32_e32 v181, 0xbf06c442, v182
	v_mov_b32_e32 v182, v181
	;; [unrolled: 4-line block ×3, first 2 shown]
	v_fmac_f32_e32 v208, 0xbf7ba420, v131
	v_add_f32_e32 v208, v208, v146
	v_add_f32_e32 v1, v151, v1
	;; [unrolled: 1-line block ×3, first 2 shown]
	v_fmac_f32_e32 v109, 0xbeb8f4ab, v116
	v_fmac_f32_e32 v139, 0xbf2c7751, v117
	;; [unrolled: 1-line block ×7, first 2 shown]
	v_add_u32_e32 v187, 0x110, v180
	v_add_u32_e32 v186, 0x198, v180
	v_fmac_f32_e32 v145, 0xbe3c28d5, v123
	buffer_load_dword v185, off, s[20:23], 0 offset:136 ; 4-byte Folded Reload
	s_waitcnt vmcnt(1)
	v_fma_f32 v4, v130, s12, -v4
	v_add_f32_e32 v2, v4, v2
	buffer_load_dword v4, off, s[20:23], 0 offset:168 ; 4-byte Folded Reload
	s_waitcnt vmcnt(0)
	v_fma_f32 v4, v131, s5, -v4
	v_add_f32_e32 v2, v4, v2
	v_add_f32_e32 v4, v89, v198
	;; [unrolled: 1-line block ×9, first 2 shown]
	buffer_load_dword v4, off, s[20:23], 0 offset:172 ; 4-byte Folded Reload
	s_waitcnt vmcnt(0)
	v_fma_f32 v4, v124, s14, -v4
	v_add_f32_e32 v4, v88, v4
	v_add_f32_e32 v4, v6, v4
	buffer_load_dword v6, off, s[20:23], 0 offset:180 ; 4-byte Folded Reload
	s_waitcnt vmcnt(0)
	v_fma_f32 v6, v126, s5, -v6
	v_add_f32_e32 v4, v6, v4
	buffer_load_dword v6, off, s[20:23], 0 offset:184 ; 4-byte Folded Reload
	s_waitcnt vmcnt(0)
	v_fma_f32 v6, v127, s13, -v6
	;; [unrolled: 4-line block ×6, first 2 shown]
	v_add_f32_e32 v4, v6, v4
	v_add_f32_e32 v6, v89, v218
	v_add_f32_e32 v6, v219, v6
	v_add_f32_e32 v6, v220, v6
	v_add_f32_e32 v6, v221, v6
	v_add_f32_e32 v6, v222, v6
	v_add_f32_e32 v6, v223, v6
	v_add_f32_e32 v6, v224, v6
	v_add_f32_e32 v7, v225, v6
	buffer_load_dword v6, off, s[20:23], 0 offset:204 ; 4-byte Folded Reload
	s_waitcnt vmcnt(0)
	v_fma_f32 v6, v124, s13, -v6
	v_add_f32_e32 v6, v88, v6
	v_add_f32_e32 v6, v8, v6
	buffer_load_dword v8, off, s[20:23], 0 offset:212 ; 4-byte Folded Reload
	s_waitcnt vmcnt(0)
	v_fma_f32 v8, v126, s2, -v8
	v_add_f32_e32 v6, v8, v6
	buffer_load_dword v8, off, s[20:23], 0 offset:216 ; 4-byte Folded Reload
	s_waitcnt vmcnt(0)
	v_fma_f32 v8, v127, s14, -v8
	;; [unrolled: 4-line block ×6, first 2 shown]
	v_add_f32_e32 v6, v8, v6
	v_add_f32_e32 v8, v89, v234
	;; [unrolled: 1-line block ×9, first 2 shown]
	buffer_load_dword v8, off, s[20:23], 0 offset:244 ; 4-byte Folded Reload
	s_waitcnt vmcnt(0)
	v_fma_f32 v8, v124, s12, -v8
	v_add_f32_e32 v8, v88, v8
	v_add_f32_e32 v8, v10, v8
	buffer_load_dword v10, off, s[20:23], 0 offset:252 ; 4-byte Folded Reload
	s_waitcnt vmcnt(0)
	v_fma_f32 v10, v126, s3, -v10
	v_add_f32_e32 v8, v10, v8
	buffer_load_dword v10, off, s[20:23], 0 offset:256 ; 4-byte Folded Reload
	s_waitcnt vmcnt(0)
	v_fma_f32 v10, v127, s4, -v10
	v_add_f32_e32 v8, v10, v8
	v_fma_f32 v10, v128, s15, -v111
	v_add_f32_e32 v8, v10, v8
	v_fma_f32 v10, v129, s5, -v247
	v_add_f32_e32 v8, v10, v8
	v_fma_f32 v10, v130, s2, -v249
	v_add_f32_e32 v8, v10, v8
	v_fma_f32 v10, v131, s13, -v229
	v_add_f32_e32 v8, v10, v8
	v_add_f32_e32 v10, v89, v250
	v_add_f32_e32 v10, v251, v10
	v_add_f32_e32 v10, v252, v10
	v_add_f32_e32 v10, v253, v10
	v_add_f32_e32 v10, v254, v10
	v_add_f32_e32 v10, v255, v10
	v_add_f32_e32 v10, v188, v10
	v_add_f32_e32 v11, v189, v10
	v_fma_f32 v10, v124, s5, -v228
	v_add_f32_e32 v10, v88, v10
	v_add_f32_e32 v10, v12, v10
	v_fma_f32 v12, v126, s12, -v217
	v_add_f32_e32 v10, v12, v10
	v_fma_f32 v12, v127, s2, -v193
	v_add_f32_e32 v10, v12, v10
	v_fma_f32 v12, v128, s4, -v215
	v_add_f32_e32 v10, v12, v10
	v_fma_f32 v12, v129, s14, -v232
	v_add_f32_e32 v10, v12, v10
	v_fma_f32 v12, v130, s13, -v211
	v_add_f32_e32 v10, v12, v10
	v_fma_f32 v12, v131, s3, -v212
	v_add_f32_e32 v10, v12, v10
	v_add_f32_e32 v12, v89, v154
	v_add_f32_e32 v12, v155, v12
	v_add_f32_e32 v12, v156, v12
	v_add_f32_e32 v12, v157, v12
	v_add_f32_e32 v12, v159, v12
	v_add_f32_e32 v12, v160, v12
	v_add_f32_e32 v12, v161, v12
	v_add_f32_e32 v13, v162, v12
	v_fma_f32 v12, v124, s4, -v226
	v_add_f32_e32 v12, v88, v12
	v_add_f32_e32 v12, v14, v12
	v_fma_f32 v14, v126, s15, -v210
	v_add_f32_e32 v12, v14, v12
	;; [unrolled: 23-line block ×3, first 2 shown]
	v_fma_f32 v90, v127, s15, -v110
	v_add_f32_e32 v14, v90, v14
	v_fma_f32 v90, v128, s14, -v108
	v_add_f32_e32 v14, v90, v14
	;; [unrolled: 2-line block ×12, first 2 shown]
	v_fma_f32 v90, v131, s15, -v182
	buffer_load_dword v154, off, s[20:23], 0 offset:128 ; 4-byte Folded Reload
	buffer_load_dword v153, off, s[20:23], 0 offset:140 ; 4-byte Folded Reload
	;; [unrolled: 1-line block ×3, first 2 shown]
	v_add_f32_e32 v88, v90, v88
	buffer_load_dword v90, off, s[20:23], 0 offset:124 ; 4-byte Folded Reload
	buffer_load_dword v91, off, s[20:23], 0 ; 4-byte Folded Reload
	v_add_f32_e32 v89, v89, v109
	v_add_f32_e32 v89, v139, v89
	;; [unrolled: 1-line block ×5, first 2 shown]
	v_mov_b32_e32 v249, v214
	v_mov_b32_e32 v165, v190
	v_add_f32_e32 v89, v143, v89
	v_mov_b32_e32 v248, v213
	v_mov_b32_e32 v166, v191
	v_add_f32_e32 v89, v144, v89
	v_add_f32_e32 v89, v145, v89
	s_waitcnt vmcnt(0)
	v_lshl_add_u32 v90, v90, 3, v91
	ds_write2_b64 v90, v[0:1], v[208:209] offset1:1
	ds_write2_b64 v90, v[206:207], v[194:195] offset0:2 offset1:3
	buffer_load_dword v0, off, s[20:23], 0 offset:144 ; 4-byte Folded Reload
	buffer_load_dword v1, off, s[20:23], 0 offset:148 ; 4-byte Folded Reload
	;; [unrolled: 1-line block ×4, first 2 shown]
	s_waitcnt vmcnt(0)
	ds_write2_b64 v90, v[91:92], v[0:1] offset0:4 offset1:5
	ds_write2_b64 v90, v[245:246], v[230:231] offset0:6 offset1:7
	;; [unrolled: 1-line block ×6, first 2 shown]
	ds_write_b64 v90, v[88:89] offset:128
.LBB0_13:
	s_or_b64 exec, exec, s[0:1]
	s_waitcnt lgkmcnt(0)
	; wave barrier
	s_waitcnt lgkmcnt(0)
	ds_read2_b64 v[8:11], v180 offset1:17
	ds_read2_b64 v[0:3], v180 offset0:68 offset1:85
	ds_read2_b64 v[88:91], v180 offset0:170 offset1:187
	;; [unrolled: 1-line block ×3, first 2 shown]
	v_add_u32_e32 v14, 0x800, v180
	ds_read2_b64 v[96:99], v14 offset0:84 offset1:101
	ds_read2_b64 v[100:103], v180 offset0:102 offset1:119
	;; [unrolled: 1-line block ×8, first 2 shown]
	ds_read_b64 v[124:125], v180 offset:3264
	s_waitcnt lgkmcnt(11)
	v_mul_f32_e32 v126, v21, v3
	v_fmac_f32_e32 v126, v20, v2
	v_mul_f32_e32 v2, v21, v2
	v_fma_f32 v127, v20, v3, -v2
	s_waitcnt lgkmcnt(10)
	v_mul_f32_e32 v128, v23, v89
	v_mul_f32_e32 v2, v23, v88
	v_fmac_f32_e32 v128, v22, v88
	v_fma_f32 v88, v22, v89, -v2
	s_waitcnt lgkmcnt(9)
	v_mul_f32_e32 v89, v17, v95
	v_mul_f32_e32 v2, v17, v94
	v_fmac_f32_e32 v89, v16, v94
	;; [unrolled: 5-line block ×4, first 2 shown]
	v_fma_f32 v100, v20, v101, -v2
	v_mul_f32_e32 v101, v23, v91
	v_mul_f32_e32 v2, v23, v90
	v_fmac_f32_e32 v101, v22, v90
	v_fma_f32 v90, v22, v91, -v2
	s_waitcnt lgkmcnt(6)
	v_mul_f32_e32 v91, v17, v105
	v_mul_f32_e32 v2, v17, v104
	v_fmac_f32_e32 v91, v16, v104
	v_fma_f32 v104, v16, v105, -v2
	v_mul_f32_e32 v105, v19, v99
	v_mul_f32_e32 v2, v19, v98
	v_fmac_f32_e32 v105, v18, v98
	v_fma_f32 v98, v18, v99, -v2
	;; [unrolled: 4-line block ×3, first 2 shown]
	s_waitcnt lgkmcnt(4)
	v_mul_f32_e32 v103, v31, v109
	v_mul_f32_e32 v2, v31, v108
	v_fmac_f32_e32 v103, v30, v108
	v_fma_f32 v108, v30, v109, -v2
	v_mul_f32_e32 v109, v25, v107
	v_mul_f32_e32 v2, v25, v106
	v_fmac_f32_e32 v109, v24, v106
	v_fma_f32 v106, v24, v107, -v2
	s_waitcnt lgkmcnt(3)
	v_mul_f32_e32 v107, v27, v113
	v_mul_f32_e32 v2, v27, v112
	v_fmac_f32_e32 v107, v26, v112
	v_fma_f32 v112, v26, v113, -v2
	s_waitcnt lgkmcnt(2)
	v_mul_f32_e32 v113, v37, v117
	v_mul_f32_e32 v2, v37, v116
	v_fmac_f32_e32 v113, v36, v116
	v_fma_f32 v116, v36, v117, -v2
	v_mul_f32_e32 v117, v39, v111
	v_mul_f32_e32 v2, v39, v110
	v_fmac_f32_e32 v117, v38, v110
	v_fma_f32 v110, v38, v111, -v2
	s_waitcnt lgkmcnt(1)
	v_mul_f32_e32 v111, v33, v121
	v_mul_f32_e32 v2, v33, v120
	v_add_f32_e32 v3, v128, v89
	v_fmac_f32_e32 v111, v32, v120
	v_fma_f32 v120, v32, v121, -v2
	v_mul_f32_e32 v121, v35, v115
	v_mul_f32_e32 v2, v35, v114
	v_fma_f32 v15, -0.5, v3, v8
	v_fmac_f32_e32 v121, v34, v114
	v_fma_f32 v114, v34, v115, -v2
	v_mul_f32_e32 v115, v45, v119
	v_mul_f32_e32 v2, v45, v118
	v_sub_f32_e32 v3, v127, v96
	v_mov_b32_e32 v17, v15
	v_fmac_f32_e32 v115, v44, v118
	v_fma_f32 v118, v44, v119, -v2
	v_mul_f32_e32 v2, v47, v92
	v_fmac_f32_e32 v17, 0xbf737871, v3
	v_sub_f32_e32 v16, v88, v94
	v_sub_f32_e32 v18, v126, v128
	;; [unrolled: 1-line block ×3, first 2 shown]
	v_fmac_f32_e32 v15, 0x3f737871, v3
	v_mul_f32_e32 v119, v47, v93
	v_fma_f32 v47, v46, v93, -v2
	v_mul_f32_e32 v93, v41, v123
	v_mul_f32_e32 v2, v41, v122
	v_fmac_f32_e32 v17, 0xbf167918, v16
	v_add_f32_e32 v18, v18, v19
	v_fmac_f32_e32 v15, 0x3f167918, v16
	v_fmac_f32_e32 v93, v40, v122
	v_fma_f32 v122, v40, v123, -v2
	s_waitcnt lgkmcnt(0)
	v_mul_f32_e32 v123, v43, v125
	v_mul_f32_e32 v2, v43, v124
	v_fmac_f32_e32 v17, 0x3e9e377a, v18
	v_fmac_f32_e32 v15, 0x3e9e377a, v18
	v_add_f32_e32 v18, v126, v95
	v_fmac_f32_e32 v123, v42, v124
	v_fma_f32 v124, v42, v125, -v2
	v_add_f32_e32 v2, v8, v126
	v_fma_f32 v8, -0.5, v18, v8
	v_mov_b32_e32 v19, v8
	v_fmac_f32_e32 v19, 0x3f737871, v16
	v_sub_f32_e32 v18, v128, v126
	v_sub_f32_e32 v20, v89, v95
	v_fmac_f32_e32 v8, 0xbf737871, v16
	v_add_f32_e32 v16, v88, v94
	v_fmac_f32_e32 v19, 0xbf167918, v3
	v_add_f32_e32 v18, v18, v20
	v_fmac_f32_e32 v8, 0x3f167918, v3
	v_fma_f32 v16, -0.5, v16, v9
	v_fmac_f32_e32 v19, 0x3e9e377a, v18
	v_fmac_f32_e32 v8, 0x3e9e377a, v18
	v_sub_f32_e32 v21, v126, v95
	v_mov_b32_e32 v18, v16
	v_fmac_f32_e32 v18, 0x3f737871, v21
	v_sub_f32_e32 v22, v128, v89
	v_sub_f32_e32 v20, v127, v88
	;; [unrolled: 1-line block ×3, first 2 shown]
	v_fmac_f32_e32 v16, 0xbf737871, v21
	v_fmac_f32_e32 v18, 0x3f167918, v22
	v_add_f32_e32 v20, v20, v23
	v_fmac_f32_e32 v16, 0xbf167918, v22
	v_fmac_f32_e32 v18, 0x3e9e377a, v20
	;; [unrolled: 1-line block ×3, first 2 shown]
	v_add_f32_e32 v20, v127, v96
	v_add_f32_e32 v3, v9, v127
	v_fma_f32 v9, -0.5, v20, v9
	v_mov_b32_e32 v20, v9
	v_fmac_f32_e32 v20, 0xbf737871, v22
	v_sub_f32_e32 v23, v88, v127
	v_sub_f32_e32 v24, v94, v96
	v_fmac_f32_e32 v9, 0x3f737871, v22
	v_fmac_f32_e32 v20, 0x3f167918, v21
	v_add_f32_e32 v23, v23, v24
	v_fmac_f32_e32 v9, 0xbf167918, v21
	v_add_f32_e32 v22, v101, v91
	v_fmac_f32_e32 v20, 0x3e9e377a, v23
	v_fmac_f32_e32 v9, 0x3e9e377a, v23
	v_fma_f32 v23, -0.5, v22, v10
	v_sub_f32_e32 v22, v100, v98
	v_mov_b32_e32 v25, v23
	v_fmac_f32_e32 v25, 0xbf737871, v22
	v_sub_f32_e32 v24, v90, v104
	v_sub_f32_e32 v26, v97, v101
	;; [unrolled: 1-line block ×3, first 2 shown]
	v_fmac_f32_e32 v23, 0x3f737871, v22
	v_fmac_f32_e32 v25, 0xbf167918, v24
	v_add_f32_e32 v26, v26, v27
	v_fmac_f32_e32 v23, 0x3f167918, v24
	v_fmac_f32_e32 v25, 0x3e9e377a, v26
	;; [unrolled: 1-line block ×3, first 2 shown]
	v_add_f32_e32 v26, v97, v105
	v_add_f32_e32 v21, v10, v97
	v_fma_f32 v10, -0.5, v26, v10
	v_mov_b32_e32 v27, v10
	v_fmac_f32_e32 v27, 0x3f737871, v24
	v_sub_f32_e32 v26, v101, v97
	v_sub_f32_e32 v28, v91, v105
	v_fmac_f32_e32 v10, 0xbf737871, v24
	v_add_f32_e32 v24, v90, v104
	v_fmac_f32_e32 v27, 0xbf167918, v22
	v_add_f32_e32 v26, v26, v28
	v_fmac_f32_e32 v10, 0x3f167918, v22
	v_fma_f32 v24, -0.5, v24, v11
	v_fmac_f32_e32 v27, 0x3e9e377a, v26
	v_fmac_f32_e32 v10, 0x3e9e377a, v26
	v_sub_f32_e32 v29, v97, v105
	v_mov_b32_e32 v26, v24
	v_fmac_f32_e32 v26, 0x3f737871, v29
	v_sub_f32_e32 v30, v101, v91
	v_sub_f32_e32 v28, v100, v90
	;; [unrolled: 1-line block ×3, first 2 shown]
	v_fmac_f32_e32 v24, 0xbf737871, v29
	v_fmac_f32_e32 v26, 0x3f167918, v30
	v_add_f32_e32 v28, v28, v31
	v_fmac_f32_e32 v24, 0xbf167918, v30
	v_fmac_f32_e32 v26, 0x3e9e377a, v28
	;; [unrolled: 1-line block ×3, first 2 shown]
	v_add_f32_e32 v28, v100, v98
	v_add_f32_e32 v22, v11, v100
	v_fmac_f32_e32 v11, -0.5, v28
	v_mov_b32_e32 v28, v11
	v_fmac_f32_e32 v28, 0xbf737871, v30
	v_sub_f32_e32 v31, v90, v100
	v_sub_f32_e32 v32, v104, v98
	v_fmac_f32_e32 v11, 0x3f737871, v30
	v_fmac_f32_e32 v28, 0x3f167918, v29
	v_add_f32_e32 v31, v31, v32
	v_fmac_f32_e32 v11, 0xbf167918, v29
	v_add_f32_e32 v30, v103, v109
	v_fmac_f32_e32 v28, 0x3e9e377a, v31
	v_fmac_f32_e32 v11, 0x3e9e377a, v31
	v_fma_f32 v31, -0.5, v30, v4
	v_sub_f32_e32 v30, v102, v112
	v_mov_b32_e32 v33, v31
	v_fmac_f32_e32 v33, 0xbf737871, v30
	v_sub_f32_e32 v32, v108, v106
	v_sub_f32_e32 v34, v99, v103
	v_sub_f32_e32 v35, v107, v109
	v_fmac_f32_e32 v31, 0x3f737871, v30
	v_fmac_f32_e32 v33, 0xbf167918, v32
	v_add_f32_e32 v34, v34, v35
	v_fmac_f32_e32 v31, 0x3f167918, v32
	v_fmac_f32_e32 v33, 0x3e9e377a, v34
	;; [unrolled: 1-line block ×3, first 2 shown]
	v_add_f32_e32 v34, v99, v107
	v_add_f32_e32 v29, v4, v99
	v_fma_f32 v4, -0.5, v34, v4
	v_mov_b32_e32 v35, v4
	v_fmac_f32_e32 v35, 0x3f737871, v32
	v_sub_f32_e32 v34, v103, v99
	v_sub_f32_e32 v36, v109, v107
	v_fmac_f32_e32 v4, 0xbf737871, v32
	v_add_f32_e32 v32, v108, v106
	v_fmac_f32_e32 v35, 0xbf167918, v30
	v_add_f32_e32 v34, v34, v36
	v_fmac_f32_e32 v4, 0x3f167918, v30
	v_fma_f32 v32, -0.5, v32, v5
	v_fmac_f32_e32 v35, 0x3e9e377a, v34
	v_fmac_f32_e32 v4, 0x3e9e377a, v34
	v_sub_f32_e32 v37, v99, v107
	v_mov_b32_e32 v34, v32
	v_fmac_f32_e32 v34, 0x3f737871, v37
	v_sub_f32_e32 v38, v103, v109
	v_sub_f32_e32 v36, v102, v108
	;; [unrolled: 1-line block ×3, first 2 shown]
	v_fmac_f32_e32 v32, 0xbf737871, v37
	v_fmac_f32_e32 v34, 0x3f167918, v38
	v_add_f32_e32 v36, v36, v39
	v_fmac_f32_e32 v32, 0xbf167918, v38
	v_fmac_f32_e32 v34, 0x3e9e377a, v36
	;; [unrolled: 1-line block ×3, first 2 shown]
	v_add_f32_e32 v36, v102, v112
	v_add_f32_e32 v30, v5, v102
	v_fma_f32 v5, -0.5, v36, v5
	v_mov_b32_e32 v36, v5
	v_fmac_f32_e32 v36, 0xbf737871, v38
	v_sub_f32_e32 v39, v108, v102
	v_sub_f32_e32 v40, v106, v112
	v_fmac_f32_e32 v5, 0x3f737871, v38
	v_fmac_f32_e32 v36, 0x3f167918, v37
	v_add_f32_e32 v39, v39, v40
	v_fmac_f32_e32 v5, 0xbf167918, v37
	v_add_f32_e32 v38, v117, v111
	v_fmac_f32_e32 v36, 0x3e9e377a, v39
	v_fmac_f32_e32 v5, 0x3e9e377a, v39
	v_fma_f32 v39, -0.5, v38, v6
	v_sub_f32_e32 v38, v116, v114
	v_mov_b32_e32 v41, v39
	v_fmac_f32_e32 v41, 0xbf737871, v38
	v_sub_f32_e32 v40, v110, v120
	v_sub_f32_e32 v42, v113, v117
	;; [unrolled: 1-line block ×3, first 2 shown]
	v_fmac_f32_e32 v39, 0x3f737871, v38
	v_fmac_f32_e32 v41, 0xbf167918, v40
	v_add_f32_e32 v42, v42, v43
	v_fmac_f32_e32 v39, 0x3f167918, v40
	v_fmac_f32_e32 v41, 0x3e9e377a, v42
	;; [unrolled: 1-line block ×3, first 2 shown]
	v_add_f32_e32 v42, v113, v121
	v_add_f32_e32 v37, v6, v113
	v_fma_f32 v6, -0.5, v42, v6
	v_mov_b32_e32 v43, v6
	v_fmac_f32_e32 v43, 0x3f737871, v40
	v_sub_f32_e32 v42, v117, v113
	v_sub_f32_e32 v44, v111, v121
	v_fmac_f32_e32 v6, 0xbf737871, v40
	v_add_f32_e32 v40, v110, v120
	v_fmac_f32_e32 v43, 0xbf167918, v38
	v_add_f32_e32 v42, v42, v44
	v_fmac_f32_e32 v6, 0x3f167918, v38
	v_fma_f32 v40, -0.5, v40, v7
	v_fmac_f32_e32 v43, 0x3e9e377a, v42
	v_fmac_f32_e32 v6, 0x3e9e377a, v42
	v_sub_f32_e32 v45, v113, v121
	v_mov_b32_e32 v42, v40
	v_fmac_f32_e32 v119, v46, v92
	v_add_f32_e32 v3, v3, v88
	v_fmac_f32_e32 v42, 0x3f737871, v45
	v_sub_f32_e32 v46, v117, v111
	v_sub_f32_e32 v44, v116, v110
	;; [unrolled: 1-line block ×3, first 2 shown]
	v_fmac_f32_e32 v40, 0xbf737871, v45
	v_fmac_f32_e32 v42, 0x3f167918, v46
	v_add_f32_e32 v44, v44, v88
	v_fmac_f32_e32 v40, 0xbf167918, v46
	v_fmac_f32_e32 v42, 0x3e9e377a, v44
	;; [unrolled: 1-line block ×3, first 2 shown]
	v_add_f32_e32 v44, v116, v114
	v_add_f32_e32 v38, v7, v116
	v_fmac_f32_e32 v7, -0.5, v44
	v_add_f32_e32 v2, v2, v128
	v_mov_b32_e32 v44, v7
	v_add_f32_e32 v2, v2, v89
	v_fmac_f32_e32 v44, 0xbf737871, v46
	v_sub_f32_e32 v88, v110, v116
	v_sub_f32_e32 v89, v120, v114
	v_fmac_f32_e32 v7, 0x3f737871, v46
	v_fmac_f32_e32 v44, 0x3f167918, v45
	v_add_f32_e32 v88, v88, v89
	v_fmac_f32_e32 v7, 0xbf167918, v45
	v_add_f32_e32 v46, v119, v93
	v_fmac_f32_e32 v44, 0x3e9e377a, v88
	v_fmac_f32_e32 v7, 0x3e9e377a, v88
	v_fma_f32 v88, -0.5, v46, v0
	v_add_f32_e32 v21, v21, v101
	v_add_f32_e32 v22, v22, v90
	v_sub_f32_e32 v46, v118, v124
	v_mov_b32_e32 v90, v88
	v_add_f32_e32 v21, v21, v91
	v_fmac_f32_e32 v90, 0xbf737871, v46
	v_sub_f32_e32 v89, v47, v122
	v_sub_f32_e32 v91, v115, v119
	;; [unrolled: 1-line block ×3, first 2 shown]
	v_fmac_f32_e32 v88, 0x3f737871, v46
	v_fmac_f32_e32 v90, 0xbf167918, v89
	v_add_f32_e32 v91, v91, v92
	v_fmac_f32_e32 v88, 0x3f167918, v89
	v_fmac_f32_e32 v90, 0x3e9e377a, v91
	v_fmac_f32_e32 v88, 0x3e9e377a, v91
	v_add_f32_e32 v91, v115, v123
	v_add_f32_e32 v45, v0, v115
	v_fma_f32 v0, -0.5, v91, v0
	v_mov_b32_e32 v92, v0
	v_add_f32_e32 v3, v3, v94
	v_fmac_f32_e32 v92, 0x3f737871, v89
	v_sub_f32_e32 v91, v119, v115
	v_sub_f32_e32 v94, v93, v123
	v_fmac_f32_e32 v0, 0xbf737871, v89
	v_add_f32_e32 v89, v47, v122
	v_fmac_f32_e32 v92, 0xbf167918, v46
	v_add_f32_e32 v91, v91, v94
	v_fmac_f32_e32 v0, 0x3f167918, v46
	v_fma_f32 v89, -0.5, v89, v1
	v_add_f32_e32 v45, v45, v119
	v_fmac_f32_e32 v92, 0x3e9e377a, v91
	v_fmac_f32_e32 v0, 0x3e9e377a, v91
	v_sub_f32_e32 v94, v115, v123
	v_mov_b32_e32 v91, v89
	v_add_f32_e32 v2, v2, v95
	v_add_f32_e32 v3, v3, v96
	;; [unrolled: 1-line block ×3, first 2 shown]
	v_fmac_f32_e32 v91, 0x3f737871, v94
	v_sub_f32_e32 v95, v119, v93
	v_sub_f32_e32 v93, v118, v47
	;; [unrolled: 1-line block ×3, first 2 shown]
	v_fmac_f32_e32 v89, 0xbf737871, v94
	v_fmac_f32_e32 v91, 0x3f167918, v95
	v_add_f32_e32 v93, v93, v96
	v_fmac_f32_e32 v89, 0xbf167918, v95
	v_fmac_f32_e32 v91, 0x3e9e377a, v93
	;; [unrolled: 1-line block ×3, first 2 shown]
	v_add_f32_e32 v93, v118, v124
	v_add_f32_e32 v29, v29, v103
	;; [unrolled: 1-line block ×6, first 2 shown]
	v_fmac_f32_e32 v1, -0.5, v93
	v_add_f32_e32 v22, v22, v104
	v_add_f32_e32 v29, v29, v109
	;; [unrolled: 1-line block ×5, first 2 shown]
	v_mov_b32_e32 v93, v1
	v_add_f32_e32 v21, v21, v105
	v_add_f32_e32 v22, v22, v98
	v_add_f32_e32 v29, v29, v107
	v_add_f32_e32 v30, v30, v112
	v_add_f32_e32 v37, v37, v121
	v_add_f32_e32 v38, v38, v114
	v_add_f32_e32 v46, v46, v47
	v_fmac_f32_e32 v93, 0xbf737871, v95
	v_sub_f32_e32 v47, v47, v118
	v_sub_f32_e32 v96, v122, v124
	v_fmac_f32_e32 v1, 0x3f737871, v95
	s_waitcnt lgkmcnt(0)
	; wave barrier
	ds_write2_b64 v180, v[2:3], v[17:18] offset1:17
	ds_write2_b64 v180, v[19:20], v[8:9] offset0:34 offset1:51
	ds_write2_b64 v180, v[15:16], v[21:22] offset0:68 offset1:85
	;; [unrolled: 1-line block ×6, first 2 shown]
	ds_write_b64 v153, v[31:32] offset:1904
	v_add_u32_e32 v2, 0x400, v152
	v_add_f32_e32 v46, v46, v122
	v_fmac_f32_e32 v93, 0x3f167918, v94
	v_add_f32_e32 v47, v47, v96
	v_fmac_f32_e32 v1, 0xbf167918, v94
	ds_write2_b64 v2, v[37:38], v[41:42] offset0:127 offset1:144
	v_add_u32_e32 v2, 0x800, v152
	v_add_f32_e32 v45, v45, v123
	v_add_f32_e32 v46, v46, v124
	v_fmac_f32_e32 v93, 0x3e9e377a, v47
	v_fmac_f32_e32 v1, 0x3e9e377a, v47
	ds_write2_b64 v2, v[43:44], v[6:7] offset0:33 offset1:50
	ds_write_b64 v152, v[39:40] offset:2584
	v_add_u32_e32 v2, 0x800, v185
	ds_write2_b64 v2, v[45:46], v[90:91] offset0:84 offset1:101
	ds_write2_b64 v2, v[92:93], v[0:1] offset0:118 offset1:135
	ds_write_b64 v185, v[88:89] offset:3264
	s_waitcnt lgkmcnt(0)
	; wave barrier
	s_waitcnt lgkmcnt(0)
	ds_read2_b64 v[8:11], v180 offset1:17
	ds_read2_b64 v[0:3], v180 offset0:68 offset1:85
	ds_read2_b64 v[15:18], v180 offset0:170 offset1:187
	;; [unrolled: 1-line block ×11, first 2 shown]
	ds_read_b64 v[92:93], v180 offset:3264
	s_waitcnt lgkmcnt(11)
	v_mul_f32_e32 v47, v57, v3
	v_fmac_f32_e32 v47, v56, v2
	v_mul_f32_e32 v2, v57, v2
	v_fma_f32 v56, v56, v3, -v2
	s_waitcnt lgkmcnt(10)
	v_mul_f32_e32 v57, v59, v16
	v_mul_f32_e32 v2, v59, v15
	v_fmac_f32_e32 v57, v58, v15
	v_fma_f32 v58, v58, v16, -v2
	s_waitcnt lgkmcnt(9)
	v_mul_f32_e32 v59, v49, v22
	v_mul_f32_e32 v2, v49, v21
	v_fmac_f32_e32 v59, v48, v21
	;; [unrolled: 5-line block ×3, first 2 shown]
	v_fma_f32 v23, v50, v24, -v2
	s_waitcnt lgkmcnt(7)
	v_mul_f32_e32 v2, v65, v27
	v_fma_f32 v49, v64, v28, -v2
	v_mul_f32_e32 v2, v67, v17
	v_fma_f32 v50, v66, v18, -v2
	s_waitcnt lgkmcnt(6)
	v_mul_f32_e32 v51, v53, v32
	v_mul_f32_e32 v2, v53, v31
	v_fmac_f32_e32 v51, v52, v31
	v_fma_f32 v31, v52, v32, -v2
	v_mul_f32_e32 v2, v55, v25
	v_mul_f32_e32 v32, v55, v26
	v_fma_f32 v52, v54, v26, -v2
	v_mul_f32_e32 v2, v73, v29
	v_mul_f32_e32 v48, v65, v28
	v_fmac_f32_e32 v32, v54, v25
	v_fma_f32 v54, v72, v30, -v2
	s_waitcnt lgkmcnt(4)
	v_mul_f32_e32 v2, v75, v35
	v_fmac_f32_e32 v48, v64, v27
	v_mul_f32_e32 v55, v75, v36
	v_fma_f32 v64, v74, v36, -v2
	v_mul_f32_e32 v36, v61, v34
	v_mul_f32_e32 v2, v61, v33
	v_fmac_f32_e32 v36, v60, v33
	v_fma_f32 v60, v60, v34, -v2
	s_waitcnt lgkmcnt(3)
	v_mul_f32_e32 v34, v63, v40
	v_mul_f32_e32 v2, v63, v39
	v_fmac_f32_e32 v34, v62, v39
	v_fma_f32 v39, v62, v40, -v2
	s_waitcnt lgkmcnt(2)
	v_mul_f32_e32 v2, v81, v43
	v_fma_f32 v62, v80, v44, -v2
	v_mul_f32_e32 v2, v83, v37
	v_mul_f32_e32 v28, v67, v18
	v_fma_f32 v63, v82, v38, -v2
	s_waitcnt lgkmcnt(1)
	v_mul_f32_e32 v2, v69, v88
	v_add_f32_e32 v3, v57, v59
	v_fmac_f32_e32 v28, v66, v17
	v_mul_f32_e32 v65, v69, v89
	v_fma_f32 v66, v68, v89, -v2
	v_mul_f32_e32 v2, v71, v41
	v_fma_f32 v15, -0.5, v3, v8
	v_fmac_f32_e32 v65, v68, v88
	v_mul_f32_e32 v67, v71, v42
	v_fma_f32 v68, v70, v42, -v2
	v_mul_f32_e32 v2, v85, v45
	v_mul_f32_e32 v71, v87, v20
	v_sub_f32_e32 v3, v56, v23
	v_mov_b32_e32 v17, v15
	v_mul_f32_e32 v53, v73, v30
	v_fmac_f32_e32 v67, v70, v41
	v_fma_f32 v70, v84, v46, -v2
	v_fmac_f32_e32 v71, v86, v19
	v_mul_f32_e32 v2, v87, v19
	v_fmac_f32_e32 v17, 0xbf737871, v3
	v_sub_f32_e32 v16, v58, v21
	v_sub_f32_e32 v18, v47, v57
	;; [unrolled: 1-line block ×3, first 2 shown]
	v_fmac_f32_e32 v15, 0x3f737871, v3
	v_fmac_f32_e32 v53, v72, v29
	v_fma_f32 v72, v86, v20, -v2
	v_mul_f32_e32 v2, v77, v90
	v_fmac_f32_e32 v17, 0xbf167918, v16
	v_add_f32_e32 v18, v18, v19
	v_fmac_f32_e32 v15, 0x3f167918, v16
	v_fmac_f32_e32 v55, v74, v35
	v_mul_f32_e32 v73, v77, v91
	v_fma_f32 v74, v76, v91, -v2
	s_waitcnt lgkmcnt(0)
	v_mul_f32_e32 v2, v79, v92
	v_fmac_f32_e32 v17, 0x3e9e377a, v18
	v_fmac_f32_e32 v15, 0x3e9e377a, v18
	v_add_f32_e32 v18, v47, v22
	v_fmac_f32_e32 v73, v76, v90
	v_fma_f32 v76, v78, v93, -v2
	v_add_f32_e32 v2, v8, v47
	v_fma_f32 v8, -0.5, v18, v8
	v_mov_b32_e32 v19, v8
	v_add_f32_e32 v2, v2, v57
	v_fmac_f32_e32 v19, 0x3f737871, v16
	v_sub_f32_e32 v18, v57, v47
	v_sub_f32_e32 v20, v59, v22
	v_fmac_f32_e32 v8, 0xbf737871, v16
	v_add_f32_e32 v16, v58, v21
	v_add_f32_e32 v2, v2, v59
	v_fmac_f32_e32 v19, 0xbf167918, v3
	v_add_f32_e32 v18, v18, v20
	v_fmac_f32_e32 v8, 0x3f167918, v3
	v_fma_f32 v16, -0.5, v16, v9
	v_add_f32_e32 v2, v2, v22
	v_fmac_f32_e32 v19, 0x3e9e377a, v18
	v_fmac_f32_e32 v8, 0x3e9e377a, v18
	v_sub_f32_e32 v22, v47, v22
	v_mov_b32_e32 v18, v16
	v_fmac_f32_e32 v18, 0x3f737871, v22
	v_sub_f32_e32 v24, v57, v59
	v_sub_f32_e32 v20, v56, v58
	;; [unrolled: 1-line block ×3, first 2 shown]
	v_fmac_f32_e32 v16, 0xbf737871, v22
	v_fmac_f32_e32 v18, 0x3f167918, v24
	v_add_f32_e32 v20, v20, v25
	v_fmac_f32_e32 v16, 0xbf167918, v24
	v_fmac_f32_e32 v18, 0x3e9e377a, v20
	;; [unrolled: 1-line block ×3, first 2 shown]
	v_add_f32_e32 v20, v56, v23
	v_add_f32_e32 v3, v9, v56
	v_fma_f32 v9, -0.5, v20, v9
	v_mov_b32_e32 v20, v9
	v_add_f32_e32 v3, v3, v58
	v_fmac_f32_e32 v20, 0xbf737871, v24
	v_fmac_f32_e32 v9, 0x3f737871, v24
	v_add_f32_e32 v3, v3, v21
	v_fmac_f32_e32 v20, 0x3f167918, v22
	v_fmac_f32_e32 v9, 0xbf167918, v22
	v_add_f32_e32 v22, v28, v51
	v_add_f32_e32 v3, v3, v23
	v_sub_f32_e32 v25, v58, v56
	v_sub_f32_e32 v21, v21, v23
	v_fma_f32 v23, -0.5, v22, v10
	v_add_f32_e32 v21, v25, v21
	v_sub_f32_e32 v22, v49, v52
	v_mov_b32_e32 v25, v23
	v_fmac_f32_e32 v25, 0xbf737871, v22
	v_sub_f32_e32 v24, v50, v31
	v_sub_f32_e32 v26, v48, v28
	;; [unrolled: 1-line block ×3, first 2 shown]
	v_fmac_f32_e32 v23, 0x3f737871, v22
	v_fmac_f32_e32 v25, 0xbf167918, v24
	v_add_f32_e32 v26, v26, v27
	v_fmac_f32_e32 v23, 0x3f167918, v24
	v_fmac_f32_e32 v25, 0x3e9e377a, v26
	;; [unrolled: 1-line block ×3, first 2 shown]
	v_add_f32_e32 v26, v48, v32
	v_fmac_f32_e32 v20, 0x3e9e377a, v21
	v_fmac_f32_e32 v9, 0x3e9e377a, v21
	v_add_f32_e32 v21, v10, v48
	v_fma_f32 v10, -0.5, v26, v10
	v_mov_b32_e32 v27, v10
	v_fmac_f32_e32 v27, 0x3f737871, v24
	v_sub_f32_e32 v26, v28, v48
	v_sub_f32_e32 v29, v51, v32
	v_fmac_f32_e32 v10, 0xbf737871, v24
	v_add_f32_e32 v24, v50, v31
	v_add_f32_e32 v21, v21, v28
	v_fmac_f32_e32 v27, 0xbf167918, v22
	v_add_f32_e32 v26, v26, v29
	v_fmac_f32_e32 v10, 0x3f167918, v22
	v_fma_f32 v24, -0.5, v24, v11
	v_add_f32_e32 v21, v21, v51
	v_fmac_f32_e32 v27, 0x3e9e377a, v26
	v_fmac_f32_e32 v10, 0x3e9e377a, v26
	v_sub_f32_e32 v29, v48, v32
	v_mov_b32_e32 v26, v24
	v_add_f32_e32 v21, v21, v32
	v_fmac_f32_e32 v26, 0x3f737871, v29
	v_sub_f32_e32 v30, v28, v51
	v_sub_f32_e32 v28, v49, v50
	;; [unrolled: 1-line block ×3, first 2 shown]
	v_fmac_f32_e32 v24, 0xbf737871, v29
	v_fmac_f32_e32 v26, 0x3f167918, v30
	v_add_f32_e32 v28, v28, v32
	v_fmac_f32_e32 v24, 0xbf167918, v30
	v_fmac_f32_e32 v26, 0x3e9e377a, v28
	;; [unrolled: 1-line block ×3, first 2 shown]
	v_add_f32_e32 v28, v49, v52
	v_add_f32_e32 v22, v11, v49
	v_fmac_f32_e32 v11, -0.5, v28
	v_add_f32_e32 v22, v22, v50
	v_mov_b32_e32 v28, v11
	v_add_f32_e32 v22, v22, v31
	v_fmac_f32_e32 v28, 0xbf737871, v30
	v_sub_f32_e32 v32, v50, v49
	v_sub_f32_e32 v31, v31, v52
	v_fmac_f32_e32 v11, 0x3f737871, v30
	v_fmac_f32_e32 v28, 0x3f167918, v29
	v_add_f32_e32 v31, v32, v31
	v_fmac_f32_e32 v11, 0xbf167918, v29
	v_add_f32_e32 v30, v55, v36
	v_fmac_f32_e32 v28, 0x3e9e377a, v31
	v_fmac_f32_e32 v11, 0x3e9e377a, v31
	v_fma_f32 v31, -0.5, v30, v4
	v_mul_f32_e32 v61, v81, v44
	v_mul_f32_e32 v44, v83, v38
	v_sub_f32_e32 v30, v54, v39
	v_mov_b32_e32 v33, v31
	v_fmac_f32_e32 v44, v82, v37
	v_fmac_f32_e32 v33, 0xbf737871, v30
	v_sub_f32_e32 v32, v64, v60
	v_sub_f32_e32 v35, v53, v55
	;; [unrolled: 1-line block ×3, first 2 shown]
	v_fmac_f32_e32 v31, 0x3f737871, v30
	v_fmac_f32_e32 v33, 0xbf167918, v32
	v_add_f32_e32 v35, v35, v37
	v_fmac_f32_e32 v31, 0x3f167918, v32
	v_fmac_f32_e32 v33, 0x3e9e377a, v35
	;; [unrolled: 1-line block ×3, first 2 shown]
	v_add_f32_e32 v35, v53, v34
	v_add_f32_e32 v29, v4, v53
	v_fma_f32 v4, -0.5, v35, v4
	v_mov_b32_e32 v35, v4
	v_add_f32_e32 v29, v29, v55
	v_fmac_f32_e32 v35, 0x3f737871, v32
	v_sub_f32_e32 v37, v55, v53
	v_sub_f32_e32 v38, v36, v34
	v_fmac_f32_e32 v4, 0xbf737871, v32
	v_add_f32_e32 v32, v64, v60
	v_add_f32_e32 v29, v29, v36
	v_fmac_f32_e32 v35, 0xbf167918, v30
	v_add_f32_e32 v37, v37, v38
	v_fmac_f32_e32 v4, 0x3f167918, v30
	v_fma_f32 v32, -0.5, v32, v5
	v_add_f32_e32 v29, v29, v34
	v_fmac_f32_e32 v35, 0x3e9e377a, v37
	v_fmac_f32_e32 v4, 0x3e9e377a, v37
	v_sub_f32_e32 v37, v53, v34
	v_mov_b32_e32 v34, v32
	v_fmac_f32_e32 v34, 0x3f737871, v37
	v_sub_f32_e32 v38, v55, v36
	v_sub_f32_e32 v36, v54, v64
	;; [unrolled: 1-line block ×3, first 2 shown]
	v_fmac_f32_e32 v32, 0xbf737871, v37
	v_fmac_f32_e32 v34, 0x3f167918, v38
	v_add_f32_e32 v36, v36, v40
	v_fmac_f32_e32 v32, 0xbf167918, v38
	v_add_f32_e32 v30, v5, v54
	v_fmac_f32_e32 v34, 0x3e9e377a, v36
	v_fmac_f32_e32 v32, 0x3e9e377a, v36
	v_add_f32_e32 v36, v54, v39
	v_add_f32_e32 v30, v30, v64
	v_fma_f32 v5, -0.5, v36, v5
	v_add_f32_e32 v30, v30, v60
	v_mov_b32_e32 v36, v5
	v_add_f32_e32 v30, v30, v39
	v_fmac_f32_e32 v36, 0xbf737871, v38
	v_sub_f32_e32 v40, v64, v54
	v_sub_f32_e32 v39, v60, v39
	v_fmac_f32_e32 v5, 0x3f737871, v38
	v_fmac_f32_e32 v36, 0x3f167918, v37
	v_add_f32_e32 v39, v40, v39
	v_fmac_f32_e32 v5, 0xbf167918, v37
	v_add_f32_e32 v38, v44, v65
	v_fmac_f32_e32 v36, 0x3e9e377a, v39
	v_fmac_f32_e32 v5, 0x3e9e377a, v39
	v_fma_f32 v39, -0.5, v38, v6
	v_fmac_f32_e32 v61, v80, v43
	v_sub_f32_e32 v38, v62, v68
	v_mov_b32_e32 v41, v39
	v_fmac_f32_e32 v41, 0xbf737871, v38
	v_sub_f32_e32 v40, v63, v66
	v_sub_f32_e32 v42, v61, v44
	v_sub_f32_e32 v43, v67, v65
	v_fmac_f32_e32 v39, 0x3f737871, v38
	v_fmac_f32_e32 v41, 0xbf167918, v40
	v_add_f32_e32 v42, v42, v43
	v_fmac_f32_e32 v39, 0x3f167918, v40
	v_fmac_f32_e32 v41, 0x3e9e377a, v42
	;; [unrolled: 1-line block ×3, first 2 shown]
	v_add_f32_e32 v42, v61, v67
	v_add_f32_e32 v37, v6, v61
	v_fma_f32 v6, -0.5, v42, v6
	v_mul_f32_e32 v69, v85, v46
	v_mov_b32_e32 v43, v6
	v_fmac_f32_e32 v69, v84, v45
	v_fmac_f32_e32 v43, 0x3f737871, v40
	v_sub_f32_e32 v42, v44, v61
	v_sub_f32_e32 v45, v65, v67
	v_fmac_f32_e32 v6, 0xbf737871, v40
	v_add_f32_e32 v40, v63, v66
	v_fmac_f32_e32 v43, 0xbf167918, v38
	v_add_f32_e32 v42, v42, v45
	v_fmac_f32_e32 v6, 0x3f167918, v38
	v_fma_f32 v40, -0.5, v40, v7
	v_fmac_f32_e32 v43, 0x3e9e377a, v42
	v_fmac_f32_e32 v6, 0x3e9e377a, v42
	v_sub_f32_e32 v45, v61, v67
	v_mov_b32_e32 v42, v40
	v_add_f32_e32 v37, v37, v44
	v_fmac_f32_e32 v42, 0x3f737871, v45
	v_sub_f32_e32 v46, v44, v65
	v_sub_f32_e32 v44, v62, v63
	;; [unrolled: 1-line block ×3, first 2 shown]
	v_fmac_f32_e32 v40, 0xbf737871, v45
	v_fmac_f32_e32 v42, 0x3f167918, v46
	v_add_f32_e32 v44, v44, v47
	v_fmac_f32_e32 v40, 0xbf167918, v46
	v_fmac_f32_e32 v42, 0x3e9e377a, v44
	;; [unrolled: 1-line block ×3, first 2 shown]
	v_add_f32_e32 v44, v62, v68
	v_add_f32_e32 v38, v7, v62
	v_fmac_f32_e32 v7, -0.5, v44
	v_mov_b32_e32 v44, v7
	v_fmac_f32_e32 v44, 0xbf737871, v46
	v_sub_f32_e32 v47, v63, v62
	v_sub_f32_e32 v48, v66, v68
	v_fmac_f32_e32 v7, 0x3f737871, v46
	v_fmac_f32_e32 v44, 0x3f167918, v45
	v_add_f32_e32 v47, v47, v48
	v_fmac_f32_e32 v7, 0xbf167918, v45
	v_add_f32_e32 v46, v71, v73
	v_mul_f32_e32 v75, v79, v93
	v_fmac_f32_e32 v44, 0x3e9e377a, v47
	v_fmac_f32_e32 v7, 0x3e9e377a, v47
	v_fma_f32 v47, -0.5, v46, v0
	v_fmac_f32_e32 v75, v78, v92
	v_sub_f32_e32 v46, v70, v76
	v_mov_b32_e32 v49, v47
	v_fmac_f32_e32 v49, 0xbf737871, v46
	v_sub_f32_e32 v48, v72, v74
	v_sub_f32_e32 v50, v69, v71
	;; [unrolled: 1-line block ×3, first 2 shown]
	v_fmac_f32_e32 v47, 0x3f737871, v46
	v_fmac_f32_e32 v49, 0xbf167918, v48
	v_add_f32_e32 v50, v50, v51
	v_fmac_f32_e32 v47, 0x3f167918, v48
	v_fmac_f32_e32 v49, 0x3e9e377a, v50
	v_fmac_f32_e32 v47, 0x3e9e377a, v50
	v_add_f32_e32 v50, v69, v75
	v_add_f32_e32 v45, v0, v69
	v_fma_f32 v0, -0.5, v50, v0
	v_mov_b32_e32 v51, v0
	v_add_f32_e32 v22, v22, v52
	v_fmac_f32_e32 v51, 0x3f737871, v48
	v_sub_f32_e32 v50, v71, v69
	v_sub_f32_e32 v52, v73, v75
	v_fmac_f32_e32 v0, 0xbf737871, v48
	v_add_f32_e32 v48, v72, v74
	v_fmac_f32_e32 v51, 0xbf167918, v46
	v_add_f32_e32 v50, v50, v52
	v_fmac_f32_e32 v0, 0x3f167918, v46
	v_fma_f32 v48, -0.5, v48, v1
	v_fmac_f32_e32 v51, 0x3e9e377a, v50
	v_fmac_f32_e32 v0, 0x3e9e377a, v50
	v_sub_f32_e32 v53, v69, v75
	v_mov_b32_e32 v50, v48
	v_fmac_f32_e32 v50, 0x3f737871, v53
	v_sub_f32_e32 v54, v71, v73
	v_sub_f32_e32 v52, v70, v72
	v_sub_f32_e32 v55, v76, v74
	v_fmac_f32_e32 v48, 0xbf737871, v53
	v_fmac_f32_e32 v50, 0x3f167918, v54
	v_add_f32_e32 v52, v52, v55
	v_fmac_f32_e32 v48, 0xbf167918, v54
	v_fmac_f32_e32 v50, 0x3e9e377a, v52
	;; [unrolled: 1-line block ×3, first 2 shown]
	v_add_f32_e32 v52, v70, v76
	v_add_f32_e32 v46, v1, v70
	v_fmac_f32_e32 v1, -0.5, v52
	ds_write_b64 v180, v[2:3]
	ds_write2_b64 v183, v[17:18], v[25:26] offset0:85 offset1:102
	ds_write2_b64 v183, v[19:20], v[27:28] offset0:170 offset1:187
	v_add_u32_e32 v2, 0x400, v183
	v_add_f32_e32 v38, v38, v63
	v_mov_b32_e32 v52, v1
	ds_write2_b64 v2, v[8:9], v[10:11] offset0:127 offset1:144
	v_add_u32_e32 v2, 0x800, v183
	v_add_f32_e32 v37, v37, v65
	v_add_f32_e32 v38, v38, v66
	;; [unrolled: 1-line block ×4, first 2 shown]
	v_fmac_f32_e32 v52, 0xbf737871, v54
	v_sub_f32_e32 v55, v72, v70
	v_sub_f32_e32 v56, v74, v76
	v_fmac_f32_e32 v1, 0x3f737871, v54
	ds_write2_b64 v2, v[15:16], v[23:24] offset0:84 offset1:101
	ds_write2_b64 v183, v[21:22], v[29:30] offset0:17 offset1:34
	;; [unrolled: 1-line block ×3, first 2 shown]
	v_add_u32_e32 v2, 0x400, v187
	v_add_f32_e32 v37, v37, v67
	v_add_f32_e32 v38, v38, v68
	;; [unrolled: 1-line block ×4, first 2 shown]
	v_fmac_f32_e32 v52, 0x3f167918, v53
	v_add_f32_e32 v55, v55, v56
	v_fmac_f32_e32 v1, 0xbf167918, v53
	ds_write2_b64 v2, v[4:5], v[31:32] offset0:127 offset1:212
	ds_write_b64 v183, v[37:38] offset:408
	ds_write2_b64 v186, v[41:42], v[43:44] offset0:85 offset1:170
	v_add_u32_e32 v2, 0x400, v186
	v_add_f32_e32 v45, v45, v75
	v_add_f32_e32 v46, v46, v76
	v_fmac_f32_e32 v52, 0x3e9e377a, v55
	v_fmac_f32_e32 v1, 0x3e9e377a, v55
	ds_write2_b64 v2, v[6:7], v[39:40] offset0:127 offset1:212
	ds_write_b64 v183, v[45:46] offset:544
	ds_write2_b64 v233, v[49:50], v[51:52] offset0:85 offset1:170
	v_add_u32_e32 v2, 0x400, v233
	ds_write2_b64 v2, v[0:1], v[47:48] offset0:127 offset1:212
	s_waitcnt lgkmcnt(0)
	; wave barrier
	s_waitcnt lgkmcnt(0)
	ds_read2_b64 v[0:3], v180 offset1:25
	buffer_load_dword v7, off, s[20:23], 0 offset:44 ; 4-byte Folded Reload
	buffer_load_dword v8, off, s[20:23], 0 offset:48 ; 4-byte Folded Reload
	s_mov_b32 s2, 0xace01346
	s_mov_b32 s3, 0x3f634679
	v_mad_u64_u32 v[12:13], s[0:1], s10, v137, 0
	v_mov_b32_e32 v4, v13
	s_waitcnt vmcnt(0) lgkmcnt(0)
	v_mul_f32_e32 v5, v8, v1
	v_fmac_f32_e32 v5, v7, v0
	v_cvt_f64_f32_e32 v[5:6], v5
	v_mul_f32_e32 v0, v8, v0
	v_fma_f32 v0, v7, v1, -v0
	v_cvt_f64_f32_e32 v[0:1], v0
	v_mul_f64 v[5:6], v[5:6], s[2:3]
	v_mad_u64_u32 v[7:8], s[0:1], s8, v154, 0
	v_mul_f64 v[0:1], v[0:1], s[2:3]
	v_mad_u64_u32 v[9:10], s[0:1], s11, v137, v[4:5]
	v_mov_b32_e32 v4, v8
	v_mad_u64_u32 v[10:11], s[0:1], s9, v154, v[4:5]
	v_mov_b32_e32 v13, v9
	v_cvt_f32_f64_e32 v4, v[5:6]
	v_cvt_f32_f64_e32 v5, v[0:1]
	v_lshlrev_b64 v[0:1], 3, v[12:13]
	buffer_load_dword v11, off, s[20:23], 0 offset:36 ; 4-byte Folded Reload
	buffer_load_dword v12, off, s[20:23], 0 offset:40 ; 4-byte Folded Reload
	v_mov_b32_e32 v8, v10
	v_mov_b32_e32 v6, s7
	s_waitcnt vmcnt(0)
	v_mul_f32_e32 v9, v12, v3
	v_fmac_f32_e32 v9, v11, v2
	v_mul_f32_e32 v2, v12, v2
	v_cvt_f64_f32_e32 v[9:10], v9
	v_fma_f32 v2, v11, v3, -v2
	v_cvt_f64_f32_e32 v[11:12], v2
	v_add_co_u32_e64 v2, s[0:1], s6, v0
	v_addc_co_u32_e64 v3, s[0:1], v6, v1, s[0:1]
	v_lshlrev_b64 v[6:7], 3, v[7:8]
	v_mul_f64 v[0:1], v[9:10], s[2:3]
	v_add_co_u32_e64 v10, s[0:1], v2, v6
	v_mul_f64 v[8:9], v[11:12], s[2:3]
	v_addc_co_u32_e64 v11, s[0:1], v3, v7, s[0:1]
	global_store_dwordx2 v[10:11], v[4:5], off
	ds_read2_b64 v[4:7], v180 offset0:50 offset1:75
	buffer_load_dword v12, off, s[20:23], 0 offset:20 ; 4-byte Folded Reload
	buffer_load_dword v13, off, s[20:23], 0 offset:24 ; 4-byte Folded Reload
	v_cvt_f32_f64_e32 v0, v[0:1]
	s_mul_i32 s0, s9, 25
	v_cvt_f32_f64_e32 v1, v[8:9]
	s_mul_hi_u32 s1, s8, 25
	s_add_i32 s1, s1, s0
	s_mul_i32 s0, s8, 25
	s_lshl_b64 s[4:5], s[0:1], 3
	v_mov_b32_e32 v19, s5
	v_add_co_u32_e64 v10, s[0:1], s4, v10
	v_addc_co_u32_e64 v11, s[0:1], v11, v19, s[0:1]
	global_store_dwordx2 v[10:11], v[0:1], off
	v_add_co_u32_e64 v10, s[0:1], s4, v10
	v_addc_co_u32_e64 v11, s[0:1], v11, v19, s[0:1]
	s_waitcnt vmcnt(1) lgkmcnt(0)
	v_mul_f32_e32 v8, v13, v5
	v_fmac_f32_e32 v8, v12, v4
	v_mul_f32_e32 v4, v13, v4
	v_fma_f32 v4, v12, v5, -v4
	v_cvt_f64_f32_e32 v[4:5], v4
	v_cvt_f64_f32_e32 v[8:9], v8
	v_mul_f64 v[4:5], v[4:5], s[2:3]
	v_mul_f64 v[8:9], v[8:9], s[2:3]
	v_cvt_f32_f64_e32 v1, v[4:5]
	v_mul_f32_e32 v4, v249, v7
	v_fmac_f32_e32 v4, v248, v6
	v_cvt_f32_f64_e32 v0, v[8:9]
	v_cvt_f64_f32_e32 v[8:9], v4
	v_mul_f32_e32 v4, v249, v6
	v_fma_f32 v4, v248, v7, -v4
	v_cvt_f64_f32_e32 v[12:13], v4
	ds_read2_b64 v[4:7], v180 offset0:100 offset1:125
	buffer_load_dword v17, off, s[20:23], 0 offset:28 ; 4-byte Folded Reload
	buffer_load_dword v18, off, s[20:23], 0 offset:32 ; 4-byte Folded Reload
	v_mul_f64 v[8:9], v[8:9], s[2:3]
	v_mul_f64 v[12:13], v[12:13], s[2:3]
	global_store_dwordx2 v[10:11], v[0:1], off
	v_add_co_u32_e64 v10, s[0:1], s4, v10
	v_addc_co_u32_e64 v11, s[0:1], v11, v19, s[0:1]
	v_cvt_f32_f64_e32 v0, v[8:9]
	v_cvt_f32_f64_e32 v1, v[12:13]
	global_store_dwordx2 v[10:11], v[0:1], off
	buffer_load_dword v12, off, s[20:23], 0 offset:12 ; 4-byte Folded Reload
	buffer_load_dword v13, off, s[20:23], 0 offset:16 ; 4-byte Folded Reload
	v_add_co_u32_e64 v10, s[0:1], s4, v10
	v_addc_co_u32_e64 v11, s[0:1], v11, v19, s[0:1]
	s_waitcnt vmcnt(4) lgkmcnt(0)
	v_mul_f32_e32 v15, v18, v5
	v_fmac_f32_e32 v15, v17, v4
	v_mul_f32_e32 v4, v18, v4
	v_fma_f32 v4, v17, v5, -v4
	v_cvt_f64_f32_e32 v[4:5], v4
	v_cvt_f64_f32_e32 v[15:16], v15
	v_mul_f64 v[4:5], v[4:5], s[2:3]
	v_mul_f64 v[8:9], v[15:16], s[2:3]
	v_cvt_f32_f64_e32 v1, v[4:5]
	s_waitcnt vmcnt(0)
	v_mul_f32_e32 v4, v13, v7
	v_fmac_f32_e32 v4, v12, v6
	v_cvt_f32_f64_e32 v0, v[8:9]
	v_cvt_f64_f32_e32 v[8:9], v4
	v_mul_f32_e32 v4, v13, v6
	v_fma_f32 v4, v12, v7, -v4
	v_cvt_f64_f32_e32 v[12:13], v4
	v_mul_f64 v[8:9], v[8:9], s[2:3]
	global_store_dwordx2 v[10:11], v[0:1], off
	v_add_co_u32_e64 v10, s[0:1], s4, v10
	v_mul_f64 v[12:13], v[12:13], s[2:3]
	v_addc_co_u32_e64 v11, s[0:1], v11, v19, s[0:1]
	ds_read2_b64 v[4:7], v180 offset0:150 offset1:175
	v_cvt_f32_f64_e32 v0, v[8:9]
	v_cvt_f32_f64_e32 v1, v[12:13]
	s_waitcnt lgkmcnt(0)
	v_mul_f32_e32 v15, v166, v5
	v_fmac_f32_e32 v15, v165, v4
	v_mul_f32_e32 v4, v166, v4
	global_store_dwordx2 v[10:11], v[0:1], off
	buffer_load_dword v12, off, s[20:23], 0 offset:100 ; 4-byte Folded Reload
	buffer_load_dword v13, off, s[20:23], 0 offset:104 ; 4-byte Folded Reload
	v_fma_f32 v4, v165, v5, -v4
	v_cvt_f64_f32_e32 v[4:5], v4
	v_cvt_f64_f32_e32 v[15:16], v15
	v_add_co_u32_e64 v10, s[0:1], s4, v10
	v_mul_f64 v[4:5], v[4:5], s[2:3]
	v_mul_f64 v[8:9], v[15:16], s[2:3]
	v_addc_co_u32_e64 v11, s[0:1], v11, v19, s[0:1]
	v_cvt_f32_f64_e32 v1, v[4:5]
	v_cvt_f32_f64_e32 v0, v[8:9]
	s_waitcnt vmcnt(0)
	v_mul_f32_e32 v4, v13, v7
	v_fmac_f32_e32 v4, v12, v6
	v_cvt_f64_f32_e32 v[8:9], v4
	v_mul_f32_e32 v4, v13, v6
	v_fma_f32 v4, v12, v7, -v4
	v_cvt_f64_f32_e32 v[12:13], v4
	ds_read2_b64 v[4:7], v180 offset0:200 offset1:225
	buffer_load_dword v17, off, s[20:23], 0 offset:84 ; 4-byte Folded Reload
	buffer_load_dword v18, off, s[20:23], 0 offset:88 ; 4-byte Folded Reload
	v_mul_f64 v[8:9], v[8:9], s[2:3]
	v_mul_f64 v[12:13], v[12:13], s[2:3]
	global_store_dwordx2 v[10:11], v[0:1], off
	v_add_co_u32_e64 v10, s[0:1], s4, v10
	v_addc_co_u32_e64 v11, s[0:1], v11, v19, s[0:1]
	v_cvt_f32_f64_e32 v0, v[8:9]
	v_cvt_f32_f64_e32 v1, v[12:13]
	global_store_dwordx2 v[10:11], v[0:1], off
	s_waitcnt vmcnt(2) lgkmcnt(0)
	v_mul_f32_e32 v15, v18, v5
	v_fmac_f32_e32 v15, v17, v4
	v_cvt_f64_f32_e32 v[15:16], v15
	v_mul_f32_e32 v4, v18, v4
	v_fma_f32 v4, v17, v5, -v4
	v_cvt_f64_f32_e32 v[4:5], v4
	v_mul_f64 v[8:9], v[15:16], s[2:3]
	v_mul_f64 v[4:5], v[4:5], s[2:3]
	v_cvt_f32_f64_e32 v0, v[8:9]
	buffer_load_dword v8, off, s[20:23], 0 offset:116 ; 4-byte Folded Reload
	buffer_load_dword v9, off, s[20:23], 0 offset:120 ; 4-byte Folded Reload
	v_cvt_f32_f64_e32 v1, v[4:5]
	s_waitcnt vmcnt(0)
	v_mul_f32_e32 v4, v9, v7
	v_fmac_f32_e32 v4, v8, v6
	v_cvt_f64_f32_e32 v[12:13], v4
	v_mul_f32_e32 v4, v9, v6
	v_fma_f32 v4, v8, v7, -v4
	v_cvt_f64_f32_e32 v[15:16], v4
	v_add_u32_e32 v4, 0x400, v180
	ds_read2_b64 v[5:8], v4 offset0:122 offset1:147
	buffer_load_dword v20, off, s[20:23], 0 offset:92 ; 4-byte Folded Reload
	buffer_load_dword v21, off, s[20:23], 0 offset:96 ; 4-byte Folded Reload
	v_add_co_u32_e64 v9, s[0:1], s4, v10
	v_addc_co_u32_e64 v10, s[0:1], v11, v19, s[0:1]
	v_mul_f64 v[11:12], v[12:13], s[2:3]
	v_mul_f64 v[15:16], v[15:16], s[2:3]
	global_store_dwordx2 v[9:10], v[0:1], off
	v_add_co_u32_e64 v9, s[0:1], s4, v9
	v_addc_co_u32_e64 v10, s[0:1], v10, v19, s[0:1]
	v_cvt_f32_f64_e32 v0, v[11:12]
	v_cvt_f32_f64_e32 v1, v[15:16]
	global_store_dwordx2 v[9:10], v[0:1], off
	buffer_load_dword v15, off, s[20:23], 0 offset:108 ; 4-byte Folded Reload
	buffer_load_dword v16, off, s[20:23], 0 offset:112 ; 4-byte Folded Reload
	v_add_co_u32_e64 v9, s[0:1], s4, v9
	v_addc_co_u32_e64 v10, s[0:1], v10, v19, s[0:1]
	s_waitcnt vmcnt(4) lgkmcnt(0)
	v_mul_f32_e32 v13, v21, v6
	v_fmac_f32_e32 v13, v20, v5
	v_mul_f32_e32 v5, v21, v5
	v_fma_f32 v5, v20, v6, -v5
	v_cvt_f64_f32_e32 v[5:6], v5
	v_cvt_f64_f32_e32 v[17:18], v13
	v_mul_f64 v[5:6], v[5:6], s[2:3]
	v_mul_f64 v[11:12], v[17:18], s[2:3]
	v_cvt_f32_f64_e32 v1, v[5:6]
	v_cvt_f32_f64_e32 v0, v[11:12]
	s_waitcnt vmcnt(0)
	v_mul_f32_e32 v5, v16, v8
	v_fmac_f32_e32 v5, v15, v7
	v_cvt_f64_f32_e32 v[11:12], v5
	v_mul_f32_e32 v5, v16, v7
	v_fma_f32 v5, v15, v8, -v5
	v_cvt_f64_f32_e32 v[15:16], v5
	ds_read2_b64 v[5:8], v14 offset0:44 offset1:69
	buffer_load_dword v20, off, s[20:23], 0 offset:4 ; 4-byte Folded Reload
	buffer_load_dword v21, off, s[20:23], 0 offset:8 ; 4-byte Folded Reload
	v_mul_f64 v[11:12], v[11:12], s[2:3]
	v_mul_f64 v[15:16], v[15:16], s[2:3]
	global_store_dwordx2 v[9:10], v[0:1], off
	v_add_co_u32_e64 v9, s[0:1], s4, v9
	v_addc_co_u32_e64 v10, s[0:1], v10, v19, s[0:1]
	v_cvt_f32_f64_e32 v0, v[11:12]
	v_cvt_f32_f64_e32 v1, v[15:16]
	global_store_dwordx2 v[9:10], v[0:1], off
	buffer_load_dword v15, off, s[20:23], 0 offset:68 ; 4-byte Folded Reload
	buffer_load_dword v16, off, s[20:23], 0 offset:72 ; 4-byte Folded Reload
	v_add_co_u32_e64 v9, s[0:1], s4, v9
	v_addc_co_u32_e64 v10, s[0:1], v10, v19, s[0:1]
	s_waitcnt vmcnt(4) lgkmcnt(0)
	v_mul_f32_e32 v13, v21, v6
	v_fmac_f32_e32 v13, v20, v5
	v_mul_f32_e32 v5, v21, v5
	v_fma_f32 v5, v20, v6, -v5
	v_cvt_f64_f32_e32 v[5:6], v5
	v_cvt_f64_f32_e32 v[17:18], v13
	v_mul_f64 v[5:6], v[5:6], s[2:3]
	v_mul_f64 v[11:12], v[17:18], s[2:3]
	v_cvt_f32_f64_e32 v1, v[5:6]
	s_waitcnt vmcnt(0)
	v_mul_f32_e32 v5, v16, v8
	v_fmac_f32_e32 v5, v15, v7
	v_cvt_f32_f64_e32 v0, v[11:12]
	v_cvt_f64_f32_e32 v[11:12], v5
	v_mul_f32_e32 v5, v16, v7
	v_fma_f32 v5, v15, v8, -v5
	v_cvt_f64_f32_e32 v[15:16], v5
	ds_read2_b64 v[5:8], v14 offset0:94 offset1:119
	buffer_load_dword v20, off, s[20:23], 0 offset:60 ; 4-byte Folded Reload
	buffer_load_dword v21, off, s[20:23], 0 offset:64 ; 4-byte Folded Reload
	v_mul_f64 v[11:12], v[11:12], s[2:3]
	v_mul_f64 v[15:16], v[15:16], s[2:3]
	global_store_dwordx2 v[9:10], v[0:1], off
	v_add_co_u32_e64 v9, s[0:1], s4, v9
	v_addc_co_u32_e64 v10, s[0:1], v10, v19, s[0:1]
	v_cvt_f32_f64_e32 v0, v[11:12]
	v_cvt_f32_f64_e32 v1, v[15:16]
	global_store_dwordx2 v[9:10], v[0:1], off
	v_add_co_u32_e64 v9, s[0:1], s4, v9
	v_addc_co_u32_e64 v10, s[0:1], v10, v19, s[0:1]
	s_waitcnt vmcnt(2) lgkmcnt(0)
	v_mul_f32_e32 v13, v21, v6
	v_fmac_f32_e32 v13, v20, v5
	v_cvt_f64_f32_e32 v[17:18], v13
	v_mul_f32_e32 v5, v21, v5
	v_fma_f32 v5, v20, v6, -v5
	v_cvt_f64_f32_e32 v[5:6], v5
	v_mul_f64 v[11:12], v[17:18], s[2:3]
	v_mul_f64 v[5:6], v[5:6], s[2:3]
	v_cvt_f32_f64_e32 v0, v[11:12]
	buffer_load_dword v11, off, s[20:23], 0 offset:76 ; 4-byte Folded Reload
	buffer_load_dword v12, off, s[20:23], 0 offset:80 ; 4-byte Folded Reload
	v_cvt_f32_f64_e32 v1, v[5:6]
	s_waitcnt vmcnt(0)
	v_mul_f32_e32 v5, v12, v8
	v_fmac_f32_e32 v5, v11, v7
	v_mul_f32_e32 v7, v12, v7
	v_fma_f32 v7, v11, v8, -v7
	ds_read_b64 v[11:12], v180 offset:3200
	buffer_load_dword v17, off, s[20:23], 0 offset:52 ; 4-byte Folded Reload
	buffer_load_dword v18, off, s[20:23], 0 offset:56 ; 4-byte Folded Reload
	v_cvt_f64_f32_e32 v[5:6], v5
	v_cvt_f64_f32_e32 v[7:8], v7
	global_store_dwordx2 v[9:10], v[0:1], off
	v_mul_f64 v[5:6], v[5:6], s[2:3]
	v_mul_f64 v[7:8], v[7:8], s[2:3]
	v_cvt_f32_f64_e32 v0, v[5:6]
	v_cvt_f32_f64_e32 v1, v[7:8]
	v_add_co_u32_e64 v7, s[0:1], s4, v9
	v_addc_co_u32_e64 v8, s[0:1], v10, v19, s[0:1]
	global_store_dwordx2 v[7:8], v[0:1], off
	v_add_co_u32_e64 v0, s[0:1], s4, v7
	v_addc_co_u32_e64 v1, s[0:1], v8, v19, s[0:1]
	s_waitcnt vmcnt(2) lgkmcnt(0)
	v_mul_f32_e32 v13, v18, v12
	v_fmac_f32_e32 v13, v17, v11
	v_mul_f32_e32 v11, v18, v11
	v_fma_f32 v11, v17, v12, -v11
	v_cvt_f64_f32_e32 v[15:16], v13
	v_cvt_f64_f32_e32 v[11:12], v11
	v_mul_f64 v[5:6], v[15:16], s[2:3]
	v_mul_f64 v[11:12], v[11:12], s[2:3]
	v_cvt_f32_f64_e32 v5, v[5:6]
	v_cvt_f32_f64_e32 v6, v[11:12]
	global_store_dwordx2 v[0:1], v[5:6], off
	s_and_b64 exec, exec, vcc
	s_cbranch_execz .LBB0_15
; %bb.14:
	global_load_dwordx2 v[5:6], v[243:244], off offset:136
	ds_read_b64 v[7:8], v183 offset:136
	v_mov_b32_e32 v15, s5
	v_or_b32_e32 v13, 0xc0, v154
	s_waitcnt vmcnt(0) lgkmcnt(0)
	v_mul_f32_e32 v9, v8, v6
	v_mul_f32_e32 v6, v7, v6
	v_fmac_f32_e32 v9, v7, v5
	v_fma_f32 v7, v5, v8, -v6
	v_cvt_f64_f32_e32 v[5:6], v9
	v_cvt_f64_f32_e32 v[7:8], v7
	v_mov_b32_e32 v9, 0xfffff408
	v_mad_u64_u32 v[0:1], s[0:1], s8, v9, v[0:1]
	v_mul_f64 v[5:6], v[5:6], s[2:3]
	v_mul_f64 v[7:8], v[7:8], s[2:3]
	s_mul_i32 s0, s9, 0xfffff408
	s_sub_i32 s0, s0, s8
	v_add_u32_e32 v1, s0, v1
	v_cvt_f32_f64_e32 v5, v[5:6]
	v_cvt_f32_f64_e32 v6, v[7:8]
	global_store_dwordx2 v[0:1], v[5:6], off
	global_load_dwordx2 v[9:10], v[243:244], off offset:336
	ds_read2_b64 v[5:8], v180 offset0:42 offset1:67
	v_add_co_u32_e32 v0, vcc, s4, v0
	v_addc_co_u32_e32 v1, vcc, v1, v15, vcc
	s_waitcnt vmcnt(0) lgkmcnt(0)
	v_mul_f32_e32 v11, v6, v10
	v_mul_f32_e32 v10, v5, v10
	v_fmac_f32_e32 v11, v5, v9
	v_fma_f32 v9, v9, v6, -v10
	v_cvt_f64_f32_e32 v[5:6], v11
	v_cvt_f64_f32_e32 v[9:10], v9
	v_mul_f64 v[5:6], v[5:6], s[2:3]
	v_mul_f64 v[9:10], v[9:10], s[2:3]
	v_cvt_f32_f64_e32 v5, v[5:6]
	v_cvt_f32_f64_e32 v6, v[9:10]
	global_store_dwordx2 v[0:1], v[5:6], off
	global_load_dwordx2 v[5:6], v[243:244], off offset:536
	v_add_co_u32_e32 v0, vcc, s4, v0
	v_addc_co_u32_e32 v1, vcc, v1, v15, vcc
	s_waitcnt vmcnt(0)
	v_mul_f32_e32 v9, v8, v6
	v_mul_f32_e32 v6, v7, v6
	v_fmac_f32_e32 v9, v7, v5
	v_fma_f32 v7, v5, v8, -v6
	v_cvt_f64_f32_e32 v[5:6], v9
	v_cvt_f64_f32_e32 v[7:8], v7
	v_mul_f64 v[5:6], v[5:6], s[2:3]
	v_mul_f64 v[7:8], v[7:8], s[2:3]
	v_cvt_f32_f64_e32 v5, v[5:6]
	v_cvt_f32_f64_e32 v6, v[7:8]
	global_store_dwordx2 v[0:1], v[5:6], off
	global_load_dwordx2 v[9:10], v[243:244], off offset:736
	ds_read2_b64 v[5:8], v180 offset0:92 offset1:117
	v_add_co_u32_e32 v0, vcc, s4, v0
	v_addc_co_u32_e32 v1, vcc, v1, v15, vcc
	s_waitcnt vmcnt(0) lgkmcnt(0)
	v_mul_f32_e32 v11, v6, v10
	v_mul_f32_e32 v10, v5, v10
	v_fmac_f32_e32 v11, v5, v9
	v_fma_f32 v9, v9, v6, -v10
	v_cvt_f64_f32_e32 v[5:6], v11
	v_cvt_f64_f32_e32 v[9:10], v9
	v_mul_f64 v[5:6], v[5:6], s[2:3]
	v_mul_f64 v[9:10], v[9:10], s[2:3]
	v_cvt_f32_f64_e32 v5, v[5:6]
	v_cvt_f32_f64_e32 v6, v[9:10]
	global_store_dwordx2 v[0:1], v[5:6], off
	global_load_dwordx2 v[5:6], v[243:244], off offset:936
	v_add_co_u32_e32 v0, vcc, s4, v0
	v_addc_co_u32_e32 v1, vcc, v1, v15, vcc
	s_waitcnt vmcnt(0)
	v_mul_f32_e32 v9, v8, v6
	v_mul_f32_e32 v6, v7, v6
	v_fmac_f32_e32 v9, v7, v5
	v_fma_f32 v7, v5, v8, -v6
	v_cvt_f64_f32_e32 v[5:6], v9
	v_cvt_f64_f32_e32 v[7:8], v7
	v_mul_f64 v[5:6], v[5:6], s[2:3]
	v_mul_f64 v[7:8], v[7:8], s[2:3]
	v_cvt_f32_f64_e32 v5, v[5:6]
	v_cvt_f32_f64_e32 v6, v[7:8]
	global_store_dwordx2 v[0:1], v[5:6], off
	global_load_dwordx2 v[9:10], v[243:244], off offset:1136
	ds_read2_b64 v[5:8], v180 offset0:142 offset1:167
	v_add_co_u32_e32 v0, vcc, s4, v0
	v_addc_co_u32_e32 v1, vcc, v1, v15, vcc
	s_waitcnt vmcnt(0) lgkmcnt(0)
	v_mul_f32_e32 v11, v6, v10
	v_mul_f32_e32 v10, v5, v10
	v_fmac_f32_e32 v11, v5, v9
	v_fma_f32 v9, v9, v6, -v10
	v_cvt_f64_f32_e32 v[5:6], v11
	v_cvt_f64_f32_e32 v[9:10], v9
	v_mad_u64_u32 v[11:12], s[0:1], s8, v13, 0
	v_mul_f64 v[5:6], v[5:6], s[2:3]
	v_mul_f64 v[9:10], v[9:10], s[2:3]
	v_mad_u64_u32 v[12:13], s[0:1], s9, v13, v[12:13]
	v_mov_b32_e32 v13, 0x190
	v_lshlrev_b64 v[11:12], 3, v[11:12]
	v_cvt_f32_f64_e32 v5, v[5:6]
	v_cvt_f32_f64_e32 v6, v[9:10]
	global_store_dwordx2 v[0:1], v[5:6], off
	global_load_dwordx2 v[5:6], v[243:244], off offset:1336
	v_add_co_u32_e32 v0, vcc, s4, v0
	v_addc_co_u32_e32 v1, vcc, v1, v15, vcc
	s_waitcnt vmcnt(0)
	v_mul_f32_e32 v9, v8, v6
	v_mul_f32_e32 v6, v7, v6
	v_fmac_f32_e32 v9, v7, v5
	v_fma_f32 v7, v5, v8, -v6
	v_cvt_f64_f32_e32 v[5:6], v9
	v_cvt_f64_f32_e32 v[7:8], v7
	v_mul_f64 v[5:6], v[5:6], s[2:3]
	v_mul_f64 v[7:8], v[7:8], s[2:3]
	v_cvt_f32_f64_e32 v5, v[5:6]
	v_cvt_f32_f64_e32 v6, v[7:8]
	global_store_dwordx2 v[0:1], v[5:6], off
	global_load_dwordx2 v[9:10], v[243:244], off offset:1536
	ds_read2_b64 v[5:8], v180 offset0:192 offset1:217
	v_mad_u64_u32 v[0:1], s[0:1], s8, v13, v[0:1]
	s_mul_i32 s0, s9, 0x190
	v_add_u32_e32 v1, s0, v1
	s_waitcnt vmcnt(0) lgkmcnt(0)
	v_mul_f32_e32 v16, v6, v10
	v_mul_f32_e32 v10, v5, v10
	v_fmac_f32_e32 v16, v5, v9
	v_fma_f32 v9, v9, v6, -v10
	v_cvt_f64_f32_e32 v[5:6], v16
	v_cvt_f64_f32_e32 v[9:10], v9
	v_mul_f64 v[5:6], v[5:6], s[2:3]
	v_mul_f64 v[9:10], v[9:10], s[2:3]
	v_cvt_f32_f64_e32 v5, v[5:6]
	v_cvt_f32_f64_e32 v6, v[9:10]
	v_add_co_u32_e32 v9, vcc, v2, v11
	v_addc_co_u32_e32 v10, vcc, v3, v12, vcc
	global_store_dwordx2 v[9:10], v[5:6], off
	global_load_dwordx2 v[5:6], v[243:244], off offset:1736
	v_or_b32_e32 v12, 0x188, v154
	s_waitcnt vmcnt(0)
	v_mul_f32_e32 v9, v8, v6
	v_mul_f32_e32 v6, v7, v6
	v_fmac_f32_e32 v9, v7, v5
	v_fma_f32 v7, v5, v8, -v6
	v_cvt_f64_f32_e32 v[5:6], v9
	v_cvt_f64_f32_e32 v[7:8], v7
	v_mul_f64 v[5:6], v[5:6], s[2:3]
	v_mul_f64 v[7:8], v[7:8], s[2:3]
	v_cvt_f32_f64_e32 v5, v[5:6]
	v_cvt_f32_f64_e32 v6, v[7:8]
	global_store_dwordx2 v[0:1], v[5:6], off
	global_load_dwordx2 v[8:9], v[243:244], off offset:1936
	ds_read2_b64 v[4:7], v4 offset0:114 offset1:139
	v_add_co_u32_e32 v0, vcc, s4, v0
	v_addc_co_u32_e32 v1, vcc, v1, v15, vcc
	s_waitcnt vmcnt(0) lgkmcnt(0)
	v_mul_f32_e32 v10, v5, v9
	v_mul_f32_e32 v9, v4, v9
	v_fmac_f32_e32 v10, v4, v8
	v_fma_f32 v8, v8, v5, -v9
	v_cvt_f64_f32_e32 v[4:5], v10
	v_cvt_f64_f32_e32 v[8:9], v8
	v_mul_f64 v[4:5], v[4:5], s[2:3]
	v_mul_f64 v[8:9], v[8:9], s[2:3]
	v_cvt_f32_f64_e32 v4, v[4:5]
	v_cvt_f32_f64_e32 v5, v[8:9]
	global_store_dwordx2 v[0:1], v[4:5], off
	global_load_dwordx2 v[4:5], v[243:244], off offset:2136
	v_add_co_u32_e32 v0, vcc, s4, v0
	v_addc_co_u32_e32 v1, vcc, v1, v15, vcc
	s_waitcnt vmcnt(0)
	v_mul_f32_e32 v8, v7, v5
	v_mul_f32_e32 v5, v6, v5
	v_fmac_f32_e32 v8, v6, v4
	v_fma_f32 v6, v4, v7, -v5
	v_cvt_f64_f32_e32 v[4:5], v8
	v_cvt_f64_f32_e32 v[6:7], v6
	v_mul_f64 v[4:5], v[4:5], s[2:3]
	v_mul_f64 v[6:7], v[6:7], s[2:3]
	v_cvt_f32_f64_e32 v4, v[4:5]
	v_cvt_f32_f64_e32 v5, v[6:7]
	global_store_dwordx2 v[0:1], v[4:5], off
	global_load_dwordx2 v[8:9], v[243:244], off offset:2336
	ds_read2_b64 v[4:7], v14 offset0:36 offset1:61
	v_add_co_u32_e32 v0, vcc, s4, v0
	v_addc_co_u32_e32 v1, vcc, v1, v15, vcc
	s_waitcnt vmcnt(0) lgkmcnt(0)
	v_mul_f32_e32 v10, v5, v9
	v_mul_f32_e32 v9, v4, v9
	v_fmac_f32_e32 v10, v4, v8
	v_fma_f32 v8, v8, v5, -v9
	v_cvt_f64_f32_e32 v[4:5], v10
	v_cvt_f64_f32_e32 v[8:9], v8
	v_mul_f64 v[4:5], v[4:5], s[2:3]
	v_mul_f64 v[8:9], v[8:9], s[2:3]
	v_cvt_f32_f64_e32 v4, v[4:5]
	v_cvt_f32_f64_e32 v5, v[8:9]
	global_store_dwordx2 v[0:1], v[4:5], off
	global_load_dwordx2 v[4:5], v[243:244], off offset:2536
	v_add_co_u32_e32 v0, vcc, s4, v0
	v_addc_co_u32_e32 v1, vcc, v1, v15, vcc
	;; [unrolled: 31-line block ×3, first 2 shown]
	v_mad_u64_u32 v[10:11], s[4:5], s8, v12, 0
	v_mad_u64_u32 v[11:12], s[4:5], s9, v12, v[11:12]
	v_lshlrev_b64 v[10:11], 3, v[10:11]
	v_add_co_u32_e32 v2, vcc, v2, v10
	v_addc_co_u32_e32 v3, vcc, v3, v11, vcc
	s_waitcnt vmcnt(0)
	v_mul_f32_e32 v8, v7, v5
	v_mul_f32_e32 v5, v6, v5
	v_fmac_f32_e32 v8, v6, v4
	v_fma_f32 v6, v4, v7, -v5
	v_cvt_f64_f32_e32 v[4:5], v8
	v_cvt_f64_f32_e32 v[6:7], v6
	v_mul_f64 v[4:5], v[4:5], s[2:3]
	v_mul_f64 v[6:7], v[6:7], s[2:3]
	v_cvt_f32_f64_e32 v4, v[4:5]
	v_cvt_f32_f64_e32 v5, v[6:7]
	global_store_dwordx2 v[0:1], v[4:5], off
	global_load_dwordx2 v[8:9], v[243:244], off offset:3136
	ds_read2_b64 v[4:7], v14 offset0:136 offset1:161
	s_waitcnt vmcnt(0) lgkmcnt(0)
	v_mul_f32_e32 v14, v5, v9
	v_mul_f32_e32 v9, v4, v9
	v_fmac_f32_e32 v14, v4, v8
	v_fma_f32 v8, v8, v5, -v9
	v_cvt_f64_f32_e32 v[4:5], v14
	v_cvt_f64_f32_e32 v[8:9], v8
	v_mul_f64 v[4:5], v[4:5], s[2:3]
	v_mul_f64 v[8:9], v[8:9], s[2:3]
	v_cvt_f32_f64_e32 v4, v[4:5]
	v_cvt_f32_f64_e32 v5, v[8:9]
	global_store_dwordx2 v[2:3], v[4:5], off
	global_load_dwordx2 v[2:3], v[243:244], off offset:3336
	s_waitcnt vmcnt(0)
	v_mul_f32_e32 v4, v7, v3
	v_mul_f32_e32 v3, v6, v3
	v_fmac_f32_e32 v4, v6, v2
	v_fma_f32 v5, v2, v7, -v3
	v_cvt_f64_f32_e32 v[2:3], v4
	v_cvt_f64_f32_e32 v[4:5], v5
	v_mul_f64 v[2:3], v[2:3], s[2:3]
	v_mul_f64 v[4:5], v[4:5], s[2:3]
	v_mad_u64_u32 v[0:1], s[2:3], s8, v13, v[0:1]
	v_add_u32_e32 v1, s0, v1
	v_cvt_f32_f64_e32 v2, v[2:3]
	v_cvt_f32_f64_e32 v3, v[4:5]
	global_store_dwordx2 v[0:1], v[2:3], off
.LBB0_15:
	s_endpgm
	.section	.rodata,"a",@progbits
	.p2align	6, 0x0
	.amdhsa_kernel bluestein_single_back_len425_dim1_sp_op_CI_CI
		.amdhsa_group_segment_fixed_size 10200
		.amdhsa_private_segment_fixed_size 264
		.amdhsa_kernarg_size 104
		.amdhsa_user_sgpr_count 6
		.amdhsa_user_sgpr_private_segment_buffer 1
		.amdhsa_user_sgpr_dispatch_ptr 0
		.amdhsa_user_sgpr_queue_ptr 0
		.amdhsa_user_sgpr_kernarg_segment_ptr 1
		.amdhsa_user_sgpr_dispatch_id 0
		.amdhsa_user_sgpr_flat_scratch_init 0
		.amdhsa_user_sgpr_private_segment_size 0
		.amdhsa_uses_dynamic_stack 0
		.amdhsa_system_sgpr_private_segment_wavefront_offset 1
		.amdhsa_system_sgpr_workgroup_id_x 1
		.amdhsa_system_sgpr_workgroup_id_y 0
		.amdhsa_system_sgpr_workgroup_id_z 0
		.amdhsa_system_sgpr_workgroup_info 0
		.amdhsa_system_vgpr_workitem_id 0
		.amdhsa_next_free_vgpr 256
		.amdhsa_next_free_sgpr 24
		.amdhsa_reserve_vcc 1
		.amdhsa_reserve_flat_scratch 0
		.amdhsa_float_round_mode_32 0
		.amdhsa_float_round_mode_16_64 0
		.amdhsa_float_denorm_mode_32 3
		.amdhsa_float_denorm_mode_16_64 3
		.amdhsa_dx10_clamp 1
		.amdhsa_ieee_mode 1
		.amdhsa_fp16_overflow 0
		.amdhsa_exception_fp_ieee_invalid_op 0
		.amdhsa_exception_fp_denorm_src 0
		.amdhsa_exception_fp_ieee_div_zero 0
		.amdhsa_exception_fp_ieee_overflow 0
		.amdhsa_exception_fp_ieee_underflow 0
		.amdhsa_exception_fp_ieee_inexact 0
		.amdhsa_exception_int_div_zero 0
	.end_amdhsa_kernel
	.text
.Lfunc_end0:
	.size	bluestein_single_back_len425_dim1_sp_op_CI_CI, .Lfunc_end0-bluestein_single_back_len425_dim1_sp_op_CI_CI
                                        ; -- End function
	.section	.AMDGPU.csdata,"",@progbits
; Kernel info:
; codeLenInByte = 38596
; NumSgprs: 28
; NumVgprs: 256
; ScratchSize: 264
; MemoryBound: 0
; FloatMode: 240
; IeeeMode: 1
; LDSByteSize: 10200 bytes/workgroup (compile time only)
; SGPRBlocks: 3
; VGPRBlocks: 63
; NumSGPRsForWavesPerEU: 28
; NumVGPRsForWavesPerEU: 256
; Occupancy: 1
; WaveLimiterHint : 1
; COMPUTE_PGM_RSRC2:SCRATCH_EN: 1
; COMPUTE_PGM_RSRC2:USER_SGPR: 6
; COMPUTE_PGM_RSRC2:TRAP_HANDLER: 0
; COMPUTE_PGM_RSRC2:TGID_X_EN: 1
; COMPUTE_PGM_RSRC2:TGID_Y_EN: 0
; COMPUTE_PGM_RSRC2:TGID_Z_EN: 0
; COMPUTE_PGM_RSRC2:TIDIG_COMP_CNT: 0
	.type	__hip_cuid_e6445e95868a4b19,@object ; @__hip_cuid_e6445e95868a4b19
	.section	.bss,"aw",@nobits
	.globl	__hip_cuid_e6445e95868a4b19
__hip_cuid_e6445e95868a4b19:
	.byte	0                               ; 0x0
	.size	__hip_cuid_e6445e95868a4b19, 1

	.ident	"AMD clang version 19.0.0git (https://github.com/RadeonOpenCompute/llvm-project roc-6.4.0 25133 c7fe45cf4b819c5991fe208aaa96edf142730f1d)"
	.section	".note.GNU-stack","",@progbits
	.addrsig
	.addrsig_sym __hip_cuid_e6445e95868a4b19
	.amdgpu_metadata
---
amdhsa.kernels:
  - .args:
      - .actual_access:  read_only
        .address_space:  global
        .offset:         0
        .size:           8
        .value_kind:     global_buffer
      - .actual_access:  read_only
        .address_space:  global
        .offset:         8
        .size:           8
        .value_kind:     global_buffer
      - .actual_access:  read_only
        .address_space:  global
        .offset:         16
        .size:           8
        .value_kind:     global_buffer
      - .actual_access:  read_only
        .address_space:  global
        .offset:         24
        .size:           8
        .value_kind:     global_buffer
      - .actual_access:  read_only
        .address_space:  global
        .offset:         32
        .size:           8
        .value_kind:     global_buffer
      - .offset:         40
        .size:           8
        .value_kind:     by_value
      - .address_space:  global
        .offset:         48
        .size:           8
        .value_kind:     global_buffer
      - .address_space:  global
        .offset:         56
        .size:           8
        .value_kind:     global_buffer
      - .address_space:  global
        .offset:         64
        .size:           8
        .value_kind:     global_buffer
      - .address_space:  global
        .offset:         72
        .size:           8
        .value_kind:     global_buffer
      - .offset:         80
        .size:           4
        .value_kind:     by_value
      - .address_space:  global
        .offset:         88
        .size:           8
        .value_kind:     global_buffer
      - .address_space:  global
        .offset:         96
        .size:           8
        .value_kind:     global_buffer
    .group_segment_fixed_size: 10200
    .kernarg_segment_align: 8
    .kernarg_segment_size: 104
    .language:       OpenCL C
    .language_version:
      - 2
      - 0
    .max_flat_workgroup_size: 51
    .name:           bluestein_single_back_len425_dim1_sp_op_CI_CI
    .private_segment_fixed_size: 264
    .sgpr_count:     28
    .sgpr_spill_count: 0
    .symbol:         bluestein_single_back_len425_dim1_sp_op_CI_CI.kd
    .uniform_work_group_size: 1
    .uses_dynamic_stack: false
    .vgpr_count:     256
    .vgpr_spill_count: 65
    .wavefront_size: 64
amdhsa.target:   amdgcn-amd-amdhsa--gfx906
amdhsa.version:
  - 1
  - 2
...

	.end_amdgpu_metadata
